;; amdgpu-corpus repo=zjin-lcf/HeCBench kind=compiled arch=gfx906 opt=O3
	.amdgcn_target "amdgcn-amd-amdhsa--gfx906"
	.amdhsa_code_object_version 6
	.text
	.protected	_Z19kernel_baseToNumberPcl ; -- Begin function _Z19kernel_baseToNumberPcl
	.globl	_Z19kernel_baseToNumberPcl
	.p2align	8
	.type	_Z19kernel_baseToNumberPcl,@function
_Z19kernel_baseToNumberPcl:             ; @_Z19kernel_baseToNumberPcl
; %bb.0:
	s_load_dword s0, s[4:5], 0x1c
	s_load_dwordx4 s[12:15], s[4:5], 0x0
	v_mov_b32_e32 v1, 0
	s_waitcnt lgkmcnt(0)
	s_and_b32 s0, s0, 0xffff
	s_mul_i32 s6, s6, s0
	v_add_u32_e32 v0, s6, v0
	v_cmp_gt_i64_e32 vcc, s[14:15], v[0:1]
	s_and_saveexec_b64 s[0:1], vcc
	s_cbranch_execz .LBB0_44
; %bb.1:
	v_not_b32_e32 v2, v0
	v_mov_b32_e32 v3, s15
	v_add_co_u32_e32 v2, vcc, s14, v2
	v_addc_co_u32_e32 v3, vcc, -1, v3, vcc
	s_mov_b64 s[0:1], 0xbfff
	v_cmp_lt_u64_e32 vcc, s[0:1], v[2:3]
	s_mov_b64 s[0:1], -1
	s_and_saveexec_b64 s[16:17], vcc
	s_cbranch_execz .LBB0_5
; %bb.2:
	v_lshrrev_b64 v[1:2], 14, v[2:3]
	v_mov_b32_e32 v6, s13
	v_add_co_u32_e32 v1, vcc, 1, v1
	v_addc_co_u32_e32 v2, vcc, 0, v2, vcc
	v_mov_b32_e32 v4, v2
	v_and_b32_e32 v3, -4, v1
	v_add_co_u32_e32 v5, vcc, s12, v0
	v_mov_b32_e32 v8, v4
	v_addc_co_u32_e32 v6, vcc, 0, v6, vcc
	s_mov_b64 s[18:19], 0
	s_movk_i32 s20, 0x41
	s_movk_i32 s21, 0x54
	;; [unrolled: 1-line block ×5, first 2 shown]
	v_mov_b32_e32 v7, v3
.LBB0_3:                                ; =>This Inner Loop Header: Depth=1
	v_add_co_u32_e32 v9, vcc, 0x4000, v5
	v_addc_co_u32_e32 v10, vcc, 0, v6, vcc
	global_load_ubyte v15, v[5:6], off
	global_load_ubyte v16, v[9:10], off
	v_add_co_u32_e32 v11, vcc, 0x8000, v5
	v_addc_co_u32_e32 v12, vcc, 0, v6, vcc
	v_add_co_u32_e32 v13, vcc, 0xc000, v5
	v_addc_co_u32_e32 v14, vcc, 0, v6, vcc
	global_load_ubyte v17, v[11:12], off
	global_load_ubyte v18, v[13:14], off
	v_add_co_u32_e32 v7, vcc, -4, v7
	v_addc_co_u32_e32 v8, vcc, -1, v8, vcc
	v_cmp_eq_u64_e64 s[0:1], 0, v[7:8]
	s_waitcnt vmcnt(3)
	v_and_b32_e32 v15, 0xdf, v15
	v_cmp_eq_u16_e32 vcc, s21, v15
	v_cmp_eq_u16_e64 s[2:3], s22, v15
	v_cmp_eq_u16_e64 s[4:5], s20, v15
	v_cndmask_b32_e64 v19, 4, 0, s[4:5]
	s_or_b64 s[2:3], vcc, s[2:3]
	v_cndmask_b32_e64 v19, v19, 3, s[2:3]
	v_cmp_ne_u16_e32 vcc, s23, v15
	s_waitcnt vmcnt(2)
	v_and_b32_e32 v16, 0xdf, v16
	v_cndmask_b32_e32 v19, 2, v19, vcc
	s_waitcnt vmcnt(1)
	v_and_b32_e32 v17, 0xdf, v17
	v_cmp_ne_u16_e32 vcc, s24, v15
	s_waitcnt vmcnt(0)
	v_and_b32_e32 v15, 0xdf, v18
	v_cmp_eq_u16_e64 s[2:3], s21, v16
	v_cmp_eq_u16_e64 s[4:5], s22, v16
	;; [unrolled: 1-line block ×4, first 2 shown]
	v_cndmask_b32_e32 v19, 1, v19, vcc
	v_cmp_eq_u16_e32 vcc, s20, v15
	v_cndmask_b32_e64 v20, 4, 0, s[6:7]
	v_cmp_eq_u16_e64 s[6:7], s21, v17
	v_cmp_eq_u16_e64 s[8:9], s22, v17
	v_cndmask_b32_e64 v18, 4, 0, s[10:11]
	s_or_b64 s[2:3], s[2:3], s[4:5]
	v_cmp_eq_u16_e64 s[4:5], s21, v15
	v_cmp_eq_u16_e64 s[10:11], s22, v15
	v_cndmask_b32_e64 v21, 4, 0, vcc
	global_store_byte v[5:6], v19, off
	v_add_co_u32_e32 v5, vcc, 0x10000, v5
	v_cndmask_b32_e64 v20, v20, 3, s[2:3]
	v_cmp_ne_u16_e64 s[2:3], s23, v16
	s_or_b64 s[6:7], s[6:7], s[8:9]
	s_or_b64 s[4:5], s[4:5], s[10:11]
	v_addc_co_u32_e32 v6, vcc, 0, v6, vcc
	v_cndmask_b32_e64 v18, v18, 3, s[6:7]
	v_cndmask_b32_e64 v20, 2, v20, s[2:3]
	v_cmp_ne_u16_e64 s[2:3], s23, v17
	v_cmp_ne_u16_e64 s[6:7], s24, v16
	v_cndmask_b32_e64 v16, v21, 3, s[4:5]
	v_cmp_ne_u16_e32 vcc, s23, v15
	v_cndmask_b32_e64 v18, 2, v18, s[2:3]
	v_cmp_ne_u16_e64 s[2:3], s24, v17
	v_cndmask_b32_e64 v17, 1, v20, s[6:7]
	v_cndmask_b32_e32 v16, 2, v16, vcc
	v_cmp_ne_u16_e32 vcc, s24, v15
	v_cndmask_b32_e64 v18, 1, v18, s[2:3]
	v_lshlrev_b16_e32 v17, 8, v17
	v_cndmask_b32_e32 v15, 1, v16, vcc
	v_or_b32_e32 v16, v19, v17
	global_store_byte v[11:12], v18, off
	v_lshlrev_b16_e32 v11, 8, v15
	v_lshrrev_b32_e32 v12, 8, v16
	v_or_b32_e32 v11, v18, v11
	s_or_b64 s[18:19], s[0:1], s[18:19]
	global_store_byte v[9:10], v12, off
	v_lshrrev_b32_e32 v9, 8, v11
	global_store_byte v[13:14], v9, off
	s_andn2_b64 exec, exec, s[18:19]
	s_cbranch_execnz .LBB0_3
; %bb.4:
	s_or_b64 exec, exec, s[18:19]
	v_lshlrev_b64 v[5:6], 14, v[3:4]
	v_cmp_ne_u64_e32 vcc, v[1:2], v[3:4]
	v_add_co_u32_e64 v0, s[0:1], v5, v0
	v_addc_co_u32_e64 v1, s[0:1], 0, v6, s[0:1]
	s_orn2_b64 s[0:1], vcc, exec
.LBB0_5:
	s_or_b64 exec, exec, s[16:17]
	s_and_b64 exec, exec, s[0:1]
	s_cbranch_execz .LBB0_44
; %bb.6:
	s_mov_b64 s[2:3], 0
	v_mov_b32_e32 v4, s13
	s_movk_i32 s13, 0x60
	s_movk_i32 s26, 0x66
	;; [unrolled: 1-line block ×16, first 2 shown]
	s_branch .LBB0_8
.LBB0_7:                                ;   in Loop: Header=BB0_8 Depth=1
	s_or_b64 exec, exec, s[0:1]
	v_add_co_u32_e32 v0, vcc, 0x4000, v0
	v_addc_co_u32_e32 v1, vcc, 0, v1, vcc
	v_cmp_le_i64_e32 vcc, s[14:15], v[0:1]
	global_store_byte v[2:3], v6, off
	s_or_b64 s[2:3], vcc, s[2:3]
	s_andn2_b64 exec, exec, s[2:3]
	s_cbranch_execz .LBB0_44
.LBB0_8:                                ; =>This Inner Loop Header: Depth=1
	v_add_co_u32_e32 v2, vcc, s12, v0
	v_addc_co_u32_e32 v3, vcc, v4, v1, vcc
	global_load_ubyte v5, v[2:3], off
	s_mov_b64 s[0:1], 0
	s_mov_b64 s[16:17], 0
	;; [unrolled: 1-line block ×5, first 2 shown]
	s_waitcnt vmcnt(0)
	v_cmp_lt_i16_e32 vcc, s13, v5
	s_and_saveexec_b64 s[10:11], vcc
	s_xor_b64 s[10:11], exec, s[10:11]
	s_cbranch_execnz .LBB0_17
; %bb.9:                                ;   in Loop: Header=BB0_8 Depth=1
	s_or_saveexec_b64 s[10:11], s[10:11]
	s_mov_b64 s[18:19], 0
	s_xor_b64 exec, exec, s[10:11]
	s_cbranch_execnz .LBB0_30
.LBB0_10:                               ;   in Loop: Header=BB0_8 Depth=1
	s_or_b64 exec, exec, s[10:11]
	v_mov_b32_e32 v6, 0
	s_and_saveexec_b64 s[10:11], s[16:17]
	s_cbranch_execnz .LBB0_35
.LBB0_11:                               ;   in Loop: Header=BB0_8 Depth=1
	s_or_b64 exec, exec, s[10:11]
	s_and_saveexec_b64 s[10:11], s[0:1]
	s_cbranch_execnz .LBB0_36
.LBB0_12:                               ;   in Loop: Header=BB0_8 Depth=1
	s_or_b64 exec, exec, s[10:11]
	s_and_saveexec_b64 s[0:1], s[8:9]
	s_xor_b64 s[0:1], exec, s[0:1]
	s_cbranch_execnz .LBB0_37
.LBB0_13:                               ;   in Loop: Header=BB0_8 Depth=1
	s_or_b64 exec, exec, s[0:1]
	s_mov_b64 s[0:1], 0
	s_and_saveexec_b64 s[8:9], s[18:19]
	s_cbranch_execnz .LBB0_38
.LBB0_14:                               ;   in Loop: Header=BB0_8 Depth=1
	s_or_b64 exec, exec, s[8:9]
	s_and_saveexec_b64 s[8:9], s[6:7]
	s_cbranch_execnz .LBB0_41
.LBB0_15:                               ;   in Loop: Header=BB0_8 Depth=1
	s_or_b64 exec, exec, s[8:9]
	s_and_saveexec_b64 s[6:7], s[0:1]
	s_cbranch_execnz .LBB0_42
.LBB0_16:                               ;   in Loop: Header=BB0_8 Depth=1
	s_or_b64 exec, exec, s[6:7]
	s_and_saveexec_b64 s[0:1], s[4:5]
	s_cbranch_execz .LBB0_7
	s_branch .LBB0_43
.LBB0_17:                               ;   in Loop: Header=BB0_8 Depth=1
	v_cmp_lt_i16_e32 vcc, s26, v5
	s_and_saveexec_b64 s[18:19], vcc
	s_xor_b64 s[18:19], exec, s[18:19]
	s_cbranch_execz .LBB0_23
; %bb.18:                               ;   in Loop: Header=BB0_8 Depth=1
	v_cmp_lt_i16_e32 vcc, s27, v5
	s_and_saveexec_b64 s[20:21], vcc
	s_xor_b64 s[20:21], exec, s[20:21]
; %bb.19:                               ;   in Loop: Header=BB0_8 Depth=1
	v_cmp_gt_i16_e32 vcc, s28, v5
	s_mov_b64 s[4:5], exec
	s_and_b64 s[16:17], vcc, exec
; %bb.20:                               ;   in Loop: Header=BB0_8 Depth=1
	s_andn2_saveexec_b64 s[20:21], s[20:21]
; %bb.21:                               ;   in Loop: Header=BB0_8 Depth=1
	v_cmp_eq_u16_e32 vcc, s29, v5
	s_or_b64 s[4:5], s[4:5], exec
	s_and_b64 s[8:9], vcc, exec
; %bb.22:                               ;   in Loop: Header=BB0_8 Depth=1
	s_or_b64 exec, exec, s[20:21]
	s_and_b64 s[4:5], s[4:5], exec
	s_and_b64 s[8:9], s[8:9], exec
	;; [unrolled: 1-line block ×3, first 2 shown]
.LBB0_23:                               ;   in Loop: Header=BB0_8 Depth=1
	s_andn2_saveexec_b64 s[18:19], s[18:19]
	s_cbranch_execz .LBB0_29
; %bb.24:                               ;   in Loop: Header=BB0_8 Depth=1
	v_cmp_lt_i16_e32 vcc, s30, v5
	s_mov_b64 s[20:21], s[4:5]
	s_and_saveexec_b64 s[22:23], vcc
	s_xor_b64 s[22:23], exec, s[22:23]
; %bb.25:                               ;   in Loop: Header=BB0_8 Depth=1
	v_cmp_eq_u16_e32 vcc, s31, v5
	s_or_b64 s[20:21], s[4:5], exec
	s_and_b64 s[6:7], vcc, exec
; %bb.26:                               ;   in Loop: Header=BB0_8 Depth=1
	s_andn2_saveexec_b64 s[22:23], s[22:23]
; %bb.27:                               ;   in Loop: Header=BB0_8 Depth=1
	v_cmp_ne_u16_e32 vcc, s33, v5
	s_andn2_b64 s[20:21], s[20:21], exec
	s_and_b64 s[24:25], vcc, exec
	s_or_b64 s[20:21], s[20:21], s[24:25]
; %bb.28:                               ;   in Loop: Header=BB0_8 Depth=1
	s_or_b64 exec, exec, s[22:23]
	s_andn2_b64 s[4:5], s[4:5], exec
	s_and_b64 s[20:21], s[20:21], exec
	s_or_b64 s[4:5], s[4:5], s[20:21]
	s_and_b64 s[6:7], s[6:7], exec
.LBB0_29:                               ;   in Loop: Header=BB0_8 Depth=1
	s_or_b64 exec, exec, s[18:19]
	s_and_b64 s[4:5], s[4:5], exec
	s_and_b64 s[6:7], s[6:7], exec
	;; [unrolled: 1-line block ×4, first 2 shown]
	s_or_saveexec_b64 s[10:11], s[10:11]
	s_mov_b64 s[18:19], 0
	s_xor_b64 exec, exec, s[10:11]
	s_cbranch_execz .LBB0_10
.LBB0_30:                               ;   in Loop: Header=BB0_8 Depth=1
	v_cmp_lt_i16_e32 vcc, s34, v5
	s_mov_b64 s[20:21], -1
	s_mov_b64 s[22:23], s[16:17]
	s_mov_b64 s[24:25], s[4:5]
	s_and_saveexec_b64 s[18:19], vcc
	s_cbranch_execz .LBB0_34
; %bb.31:                               ;   in Loop: Header=BB0_8 Depth=1
	v_cmp_lt_i16_e32 vcc, s35, v5
	s_mov_b64 s[0:1], -1
	s_mov_b64 s[22:23], s[16:17]
	s_mov_b64 s[20:21], s[4:5]
	s_and_saveexec_b64 s[24:25], vcc
; %bb.32:                               ;   in Loop: Header=BB0_8 Depth=1
	v_cmp_gt_i16_e32 vcc, s36, v5
	v_cmp_lt_i16_e64 s[0:1], s37, v5
	s_andn2_b64 s[20:21], s[4:5], exec
	s_and_b64 s[0:1], s[0:1], exec
	s_andn2_b64 s[22:23], s[16:17], exec
	s_and_b64 s[42:43], vcc, exec
	s_or_b64 s[20:21], s[20:21], s[0:1]
	s_xor_b64 s[0:1], exec, -1
	s_or_b64 s[22:23], s[22:23], s[42:43]
; %bb.33:                               ;   in Loop: Header=BB0_8 Depth=1
	s_or_b64 exec, exec, s[24:25]
	s_andn2_b64 s[24:25], s[4:5], exec
	s_and_b64 s[20:21], s[20:21], exec
	s_andn2_b64 s[42:43], s[16:17], exec
	s_and_b64 s[22:23], s[22:23], exec
	s_or_b64 s[24:25], s[24:25], s[20:21]
	s_xor_b64 s[20:21], exec, -1
	s_and_b64 s[0:1], s[0:1], exec
	s_or_b64 s[22:23], s[42:43], s[22:23]
.LBB0_34:                               ;   in Loop: Header=BB0_8 Depth=1
	s_or_b64 exec, exec, s[18:19]
	s_andn2_b64 s[4:5], s[4:5], exec
	s_and_b64 s[18:19], s[24:25], exec
	s_or_b64 s[4:5], s[4:5], s[18:19]
	s_and_b64 s[18:19], s[20:21], exec
	s_andn2_b64 s[16:17], s[16:17], exec
	s_and_b64 s[20:21], s[22:23], exec
	s_and_b64 s[0:1], s[0:1], exec
	s_or_b64 s[16:17], s[16:17], s[20:21]
	s_or_b64 exec, exec, s[10:11]
	v_mov_b32_e32 v6, 0
	s_and_saveexec_b64 s[10:11], s[16:17]
	s_cbranch_execz .LBB0_11
.LBB0_35:                               ;   in Loop: Header=BB0_8 Depth=1
	v_mov_b32_e32 v6, 3
	s_andn2_b64 s[4:5], s[4:5], exec
	s_or_b64 exec, exec, s[10:11]
	s_and_saveexec_b64 s[10:11], s[0:1]
	s_cbranch_execz .LBB0_12
.LBB0_36:                               ;   in Loop: Header=BB0_8 Depth=1
	v_cmp_ne_u16_e64 s[0:1], s38, v5
	v_cmp_eq_u16_e32 vcc, s38, v5
	s_andn2_b64 s[4:5], s[4:5], exec
	s_and_b64 s[0:1], s[0:1], exec
	s_or_b64 s[4:5], s[4:5], s[0:1]
	s_andn2_b64 s[0:1], s[8:9], exec
	s_and_b64 s[8:9], vcc, exec
	s_or_b64 s[8:9], s[0:1], s[8:9]
	s_or_b64 exec, exec, s[10:11]
	s_and_saveexec_b64 s[0:1], s[8:9]
	s_xor_b64 s[0:1], exec, s[0:1]
	s_cbranch_execz .LBB0_13
.LBB0_37:                               ;   in Loop: Header=BB0_8 Depth=1
	v_mov_b32_e32 v6, 2
	s_andn2_b64 s[4:5], s[4:5], exec
	s_or_b64 exec, exec, s[0:1]
	s_mov_b64 s[0:1], 0
	s_and_saveexec_b64 s[8:9], s[18:19]
	s_cbranch_execz .LBB0_14
.LBB0_38:                               ;   in Loop: Header=BB0_8 Depth=1
	v_cmp_lt_i16_e32 vcc, s39, v5
	s_mov_b64 s[0:1], -1
	s_mov_b64 s[10:11], s[6:7]
	s_mov_b64 s[16:17], s[4:5]
	s_and_saveexec_b64 s[18:19], vcc
; %bb.39:                               ;   in Loop: Header=BB0_8 Depth=1
	v_cmp_ne_u16_e64 s[0:1], s40, v5
	v_cmp_eq_u16_e32 vcc, s40, v5
	s_andn2_b64 s[10:11], s[4:5], exec
	s_and_b64 s[0:1], s[0:1], exec
	s_or_b64 s[16:17], s[10:11], s[0:1]
	s_andn2_b64 s[10:11], s[6:7], exec
	s_and_b64 s[20:21], vcc, exec
	s_xor_b64 s[0:1], exec, -1
	s_or_b64 s[10:11], s[10:11], s[20:21]
; %bb.40:                               ;   in Loop: Header=BB0_8 Depth=1
	s_or_b64 exec, exec, s[18:19]
	s_andn2_b64 s[4:5], s[4:5], exec
	s_and_b64 s[16:17], s[16:17], exec
	s_andn2_b64 s[6:7], s[6:7], exec
	s_and_b64 s[10:11], s[10:11], exec
	s_or_b64 s[4:5], s[4:5], s[16:17]
	s_and_b64 s[0:1], s[0:1], exec
	s_or_b64 s[6:7], s[6:7], s[10:11]
	s_or_b64 exec, exec, s[8:9]
	s_and_saveexec_b64 s[8:9], s[6:7]
	s_cbranch_execz .LBB0_15
.LBB0_41:                               ;   in Loop: Header=BB0_8 Depth=1
	v_mov_b32_e32 v6, 1
	s_andn2_b64 s[4:5], s[4:5], exec
	s_or_b64 exec, exec, s[8:9]
	s_and_saveexec_b64 s[6:7], s[0:1]
	s_cbranch_execz .LBB0_16
.LBB0_42:                               ;   in Loop: Header=BB0_8 Depth=1
	v_cmp_ne_u16_e32 vcc, s41, v5
	s_andn2_b64 s[0:1], s[4:5], exec
	s_and_b64 s[4:5], vcc, exec
	v_mov_b32_e32 v6, 0
	s_or_b64 s[4:5], s[0:1], s[4:5]
	s_or_b64 exec, exec, s[6:7]
	s_and_saveexec_b64 s[0:1], s[4:5]
	s_cbranch_execz .LBB0_7
.LBB0_43:                               ;   in Loop: Header=BB0_8 Depth=1
	v_mov_b32_e32 v6, 4
	s_branch .LBB0_7
.LBB0_44:
	s_endpgm
	.section	.rodata,"a",@progbits
	.p2align	6, 0x0
	.amdhsa_kernel _Z19kernel_baseToNumberPcl
		.amdhsa_group_segment_fixed_size 0
		.amdhsa_private_segment_fixed_size 0
		.amdhsa_kernarg_size 272
		.amdhsa_user_sgpr_count 6
		.amdhsa_user_sgpr_private_segment_buffer 1
		.amdhsa_user_sgpr_dispatch_ptr 0
		.amdhsa_user_sgpr_queue_ptr 0
		.amdhsa_user_sgpr_kernarg_segment_ptr 1
		.amdhsa_user_sgpr_dispatch_id 0
		.amdhsa_user_sgpr_flat_scratch_init 0
		.amdhsa_user_sgpr_private_segment_size 0
		.amdhsa_uses_dynamic_stack 0
		.amdhsa_system_sgpr_private_segment_wavefront_offset 0
		.amdhsa_system_sgpr_workgroup_id_x 1
		.amdhsa_system_sgpr_workgroup_id_y 0
		.amdhsa_system_sgpr_workgroup_id_z 0
		.amdhsa_system_sgpr_workgroup_info 0
		.amdhsa_system_vgpr_workitem_id 0
		.amdhsa_next_free_vgpr 22
		.amdhsa_next_free_sgpr 44
		.amdhsa_reserve_vcc 1
		.amdhsa_reserve_flat_scratch 0
		.amdhsa_float_round_mode_32 0
		.amdhsa_float_round_mode_16_64 0
		.amdhsa_float_denorm_mode_32 3
		.amdhsa_float_denorm_mode_16_64 3
		.amdhsa_dx10_clamp 1
		.amdhsa_ieee_mode 1
		.amdhsa_fp16_overflow 0
		.amdhsa_exception_fp_ieee_invalid_op 0
		.amdhsa_exception_fp_denorm_src 0
		.amdhsa_exception_fp_ieee_div_zero 0
		.amdhsa_exception_fp_ieee_overflow 0
		.amdhsa_exception_fp_ieee_underflow 0
		.amdhsa_exception_fp_ieee_inexact 0
		.amdhsa_exception_int_div_zero 0
	.end_amdhsa_kernel
	.text
.Lfunc_end0:
	.size	_Z19kernel_baseToNumberPcl, .Lfunc_end0-_Z19kernel_baseToNumberPcl
                                        ; -- End function
	.set _Z19kernel_baseToNumberPcl.num_vgpr, 22
	.set _Z19kernel_baseToNumberPcl.num_agpr, 0
	.set _Z19kernel_baseToNumberPcl.numbered_sgpr, 44
	.set _Z19kernel_baseToNumberPcl.num_named_barrier, 0
	.set _Z19kernel_baseToNumberPcl.private_seg_size, 0
	.set _Z19kernel_baseToNumberPcl.uses_vcc, 1
	.set _Z19kernel_baseToNumberPcl.uses_flat_scratch, 0
	.set _Z19kernel_baseToNumberPcl.has_dyn_sized_stack, 0
	.set _Z19kernel_baseToNumberPcl.has_recursion, 0
	.set _Z19kernel_baseToNumberPcl.has_indirect_call, 0
	.section	.AMDGPU.csdata,"",@progbits
; Kernel info:
; codeLenInByte = 1592
; TotalNumSgprs: 48
; NumVgprs: 22
; ScratchSize: 0
; MemoryBound: 0
; FloatMode: 240
; IeeeMode: 1
; LDSByteSize: 0 bytes/workgroup (compile time only)
; SGPRBlocks: 5
; VGPRBlocks: 5
; NumSGPRsForWavesPerEU: 48
; NumVGPRsForWavesPerEU: 22
; Occupancy: 10
; WaveLimiterHint : 1
; COMPUTE_PGM_RSRC2:SCRATCH_EN: 0
; COMPUTE_PGM_RSRC2:USER_SGPR: 6
; COMPUTE_PGM_RSRC2:TRAP_HANDLER: 0
; COMPUTE_PGM_RSRC2:TGID_X_EN: 1
; COMPUTE_PGM_RSRC2:TGID_Y_EN: 0
; COMPUTE_PGM_RSRC2:TGID_Z_EN: 0
; COMPUTE_PGM_RSRC2:TIDIG_COMP_CNT: 0
	.text
	.protected	_Z19kernel_compressDataPKiPKlPKcPjPii ; -- Begin function _Z19kernel_compressDataPKiPKlPKcPjPii
	.globl	_Z19kernel_compressDataPKiPKlPKcPjPii
	.p2align	8
	.type	_Z19kernel_compressDataPKiPKlPKcPjPii,@function
_Z19kernel_compressDataPKiPKlPKcPjPii:  ; @_Z19kernel_compressDataPKiPKlPKcPjPii
; %bb.0:
	s_load_dword s0, s[4:5], 0x3c
	s_load_dword s1, s[4:5], 0x28
	s_waitcnt lgkmcnt(0)
	s_and_b32 s0, s0, 0xffff
	s_mul_i32 s6, s6, s0
	v_add_u32_e32 v0, s6, v0
	v_cmp_gt_i32_e32 vcc, s1, v0
	s_and_saveexec_b64 s[0:1], vcc
	s_cbranch_execz .LBB1_12
; %bb.1:
	s_load_dwordx8 s[8:15], s[4:5], 0x0
	v_ashrrev_i32_e32 v1, 31, v0
	v_lshlrev_b64 v[2:3], 3, v[0:1]
	v_lshlrev_b64 v[0:1], 2, v[0:1]
	s_load_dwordx2 s[2:3], s[4:5], 0x20
	s_waitcnt lgkmcnt(0)
	v_mov_b32_e32 v4, s11
	v_add_co_u32_e32 v2, vcc, s10, v2
	v_addc_co_u32_e32 v3, vcc, v4, v3, vcc
	global_load_dwordx2 v[2:3], v[2:3], off
	v_mov_b32_e32 v5, s9
	v_add_co_u32_e32 v4, vcc, s8, v0
	v_addc_co_u32_e32 v5, vcc, v5, v1, vcc
	global_load_dword v6, v[4:5], off
	v_mov_b32_e32 v10, 0
	v_mov_b32_e32 v9, 0
	;; [unrolled: 1-line block ×3, first 2 shown]
	s_waitcnt vmcnt(1)
	v_ashrrev_i32_e32 v4, 31, v3
	v_lshrrev_b32_e32 v4, 28, v4
	v_add_co_u32_e64 v4, s[0:1], v2, v4
	v_addc_co_u32_e64 v5, s[0:1], 0, v3, s[0:1]
	v_ashrrev_i64 v[4:5], 4, v[4:5]
	s_waitcnt vmcnt(0)
	v_cmp_lt_i32_e32 vcc, 0, v6
	s_and_saveexec_b64 s[0:1], vcc
	s_cbranch_execz .LBB1_11
; %bb.2:
	v_ashrrev_i32_e32 v7, 31, v6
	v_add_co_u32_e32 v6, vcc, v2, v6
	v_addc_co_u32_e32 v7, vcc, v3, v7, vcc
	s_mov_b64 s[4:5], 0
	v_mov_b32_e32 v11, s13
	v_mov_b32_e32 v9, 0
	;; [unrolled: 1-line block ×3, first 2 shown]
	s_branch .LBB1_5
.LBB1_3:                                ;   in Loop: Header=BB1_5 Depth=1
	s_or_b64 exec, exec, s[8:9]
.LBB1_4:                                ;   in Loop: Header=BB1_5 Depth=1
	s_or_b64 exec, exec, s[6:7]
	v_add_co_u32_e32 v2, vcc, 1, v2
	v_addc_co_u32_e32 v3, vcc, 0, v3, vcc
	v_cmp_ge_i64_e32 vcc, v[2:3], v[6:7]
	s_or_b64 s[4:5], vcc, s[4:5]
	s_andn2_b64 exec, exec, s[4:5]
	s_cbranch_execz .LBB1_10
.LBB1_5:                                ; =>This Inner Loop Header: Depth=1
	v_add_co_u32_e32 v12, vcc, s12, v2
	v_addc_co_u32_e32 v13, vcc, v11, v3, vcc
	global_load_ubyte v12, v[12:13], off
	s_waitcnt vmcnt(0)
	v_cmp_lt_u16_e32 vcc, 3, v12
	s_and_saveexec_b64 s[6:7], vcc
	s_xor_b64 s[6:7], exec, s[6:7]
; %bb.6:                                ;   in Loop: Header=BB1_5 Depth=1
	v_add_u32_e32 v8, 1, v8
                                        ; implicit-def: $vgpr12
; %bb.7:                                ;   in Loop: Header=BB1_5 Depth=1
	s_andn2_saveexec_b64 s[6:7], s[6:7]
	s_cbranch_execz .LBB1_4
; %bb.8:                                ;   in Loop: Header=BB1_5 Depth=1
	v_lshlrev_b32_e32 v13, 1, v10
	v_and_b32_e32 v12, 0xffff, v12
	v_sub_u32_e32 v13, 30, v13
	v_add_u32_e32 v10, 1, v10
	v_lshl_add_u32 v9, v12, v13, v9
	v_cmp_eq_u32_e32 vcc, 16, v10
	s_and_saveexec_b64 s[8:9], vcc
	s_cbranch_execz .LBB1_3
; %bb.9:                                ;   in Loop: Header=BB1_5 Depth=1
	v_add_co_u32_e32 v12, vcc, 1, v4
	v_addc_co_u32_e32 v13, vcc, 0, v5, vcc
	v_lshlrev_b64 v[4:5], 2, v[4:5]
	v_mov_b32_e32 v10, s15
	v_add_co_u32_e32 v4, vcc, s14, v4
	v_addc_co_u32_e32 v5, vcc, v10, v5, vcc
	global_store_dword v[4:5], v9, off
	v_mov_b32_e32 v4, v12
	v_mov_b32_e32 v10, 0
	;; [unrolled: 1-line block ×4, first 2 shown]
	s_branch .LBB1_3
.LBB1_10:
	s_or_b64 exec, exec, s[4:5]
.LBB1_11:
	s_or_b64 exec, exec, s[0:1]
	v_lshlrev_b64 v[2:3], 2, v[4:5]
	v_mov_b32_e32 v4, s15
	v_add_co_u32_e32 v2, vcc, s14, v2
	v_addc_co_u32_e32 v3, vcc, v4, v3, vcc
	global_store_dword v[2:3], v9, off
	v_mov_b32_e32 v2, s3
	v_add_co_u32_e32 v0, vcc, s2, v0
	v_addc_co_u32_e32 v1, vcc, v2, v1, vcc
	global_store_dword v[0:1], v8, off
.LBB1_12:
	s_endpgm
	.section	.rodata,"a",@progbits
	.p2align	6, 0x0
	.amdhsa_kernel _Z19kernel_compressDataPKiPKlPKcPjPii
		.amdhsa_group_segment_fixed_size 0
		.amdhsa_private_segment_fixed_size 0
		.amdhsa_kernarg_size 304
		.amdhsa_user_sgpr_count 6
		.amdhsa_user_sgpr_private_segment_buffer 1
		.amdhsa_user_sgpr_dispatch_ptr 0
		.amdhsa_user_sgpr_queue_ptr 0
		.amdhsa_user_sgpr_kernarg_segment_ptr 1
		.amdhsa_user_sgpr_dispatch_id 0
		.amdhsa_user_sgpr_flat_scratch_init 0
		.amdhsa_user_sgpr_private_segment_size 0
		.amdhsa_uses_dynamic_stack 0
		.amdhsa_system_sgpr_private_segment_wavefront_offset 0
		.amdhsa_system_sgpr_workgroup_id_x 1
		.amdhsa_system_sgpr_workgroup_id_y 0
		.amdhsa_system_sgpr_workgroup_id_z 0
		.amdhsa_system_sgpr_workgroup_info 0
		.amdhsa_system_vgpr_workitem_id 0
		.amdhsa_next_free_vgpr 14
		.amdhsa_next_free_sgpr 16
		.amdhsa_reserve_vcc 1
		.amdhsa_reserve_flat_scratch 0
		.amdhsa_float_round_mode_32 0
		.amdhsa_float_round_mode_16_64 0
		.amdhsa_float_denorm_mode_32 3
		.amdhsa_float_denorm_mode_16_64 3
		.amdhsa_dx10_clamp 1
		.amdhsa_ieee_mode 1
		.amdhsa_fp16_overflow 0
		.amdhsa_exception_fp_ieee_invalid_op 0
		.amdhsa_exception_fp_denorm_src 0
		.amdhsa_exception_fp_ieee_div_zero 0
		.amdhsa_exception_fp_ieee_overflow 0
		.amdhsa_exception_fp_ieee_underflow 0
		.amdhsa_exception_fp_ieee_inexact 0
		.amdhsa_exception_int_div_zero 0
	.end_amdhsa_kernel
	.text
.Lfunc_end1:
	.size	_Z19kernel_compressDataPKiPKlPKcPjPii, .Lfunc_end1-_Z19kernel_compressDataPKiPKlPKcPjPii
                                        ; -- End function
	.set _Z19kernel_compressDataPKiPKlPKcPjPii.num_vgpr, 14
	.set _Z19kernel_compressDataPKiPKlPKcPjPii.num_agpr, 0
	.set _Z19kernel_compressDataPKiPKlPKcPjPii.numbered_sgpr, 16
	.set _Z19kernel_compressDataPKiPKlPKcPjPii.num_named_barrier, 0
	.set _Z19kernel_compressDataPKiPKlPKcPjPii.private_seg_size, 0
	.set _Z19kernel_compressDataPKiPKlPKcPjPii.uses_vcc, 1
	.set _Z19kernel_compressDataPKiPKlPKcPjPii.uses_flat_scratch, 0
	.set _Z19kernel_compressDataPKiPKlPKcPjPii.has_dyn_sized_stack, 0
	.set _Z19kernel_compressDataPKiPKlPKcPjPii.has_recursion, 0
	.set _Z19kernel_compressDataPKiPKlPKcPjPii.has_indirect_call, 0
	.section	.AMDGPU.csdata,"",@progbits
; Kernel info:
; codeLenInByte = 456
; TotalNumSgprs: 20
; NumVgprs: 14
; ScratchSize: 0
; MemoryBound: 0
; FloatMode: 240
; IeeeMode: 1
; LDSByteSize: 0 bytes/workgroup (compile time only)
; SGPRBlocks: 2
; VGPRBlocks: 3
; NumSGPRsForWavesPerEU: 20
; NumVGPRsForWavesPerEU: 14
; Occupancy: 10
; WaveLimiterHint : 0
; COMPUTE_PGM_RSRC2:SCRATCH_EN: 0
; COMPUTE_PGM_RSRC2:USER_SGPR: 6
; COMPUTE_PGM_RSRC2:TRAP_HANDLER: 0
; COMPUTE_PGM_RSRC2:TGID_X_EN: 1
; COMPUTE_PGM_RSRC2:TGID_Y_EN: 0
; COMPUTE_PGM_RSRC2:TGID_Z_EN: 0
; COMPUTE_PGM_RSRC2:TIDIG_COMP_CNT: 0
	.text
	.protected	_Z19kernel_createIndex4PKcPKiPKlPtS5_PlPii ; -- Begin function _Z19kernel_createIndex4PKcPKiPKlPtS5_PlPii
	.globl	_Z19kernel_createIndex4PKcPKiPKlPtS5_PlPii
	.p2align	8
	.type	_Z19kernel_createIndex4PKcPKiPKlPtS5_PlPii,@function
_Z19kernel_createIndex4PKcPKiPKlPtS5_PlPii: ; @_Z19kernel_createIndex4PKcPKiPKlPtS5_PlPii
; %bb.0:
	s_load_dword s0, s[4:5], 0x4c
	s_load_dword s1, s[4:5], 0x38
	s_waitcnt lgkmcnt(0)
	s_and_b32 s0, s0, 0xffff
	s_mul_i32 s6, s6, s0
	v_add_u32_e32 v4, s6, v0
	v_cmp_gt_i32_e32 vcc, s1, v4
	s_and_saveexec_b64 s[0:1], vcc
	s_cbranch_execz .LBB2_20
; %bb.1:
	s_load_dwordx8 s[8:15], s[4:5], 0x0
	v_ashrrev_i32_e32 v5, 31, v4
	v_lshlrev_b64 v[0:1], 2, v[4:5]
	v_mov_b32_e32 v7, 0
	v_lshlrev_b64 v[5:6], 3, v[4:5]
	s_waitcnt lgkmcnt(0)
	v_mov_b32_e32 v2, s11
	v_add_co_u32_e32 v0, vcc, s10, v0
	v_addc_co_u32_e32 v1, vcc, v2, v1, vcc
	global_load_dword v10, v[0:1], off
	v_mov_b32_e32 v3, 0
	v_mov_b32_e32 v8, 0
	;; [unrolled: 1-line block ×5, first 2 shown]
	s_waitcnt vmcnt(0)
	v_cmp_lt_i32_e32 vcc, 0, v10
	s_and_saveexec_b64 s[0:1], vcc
	s_cbranch_execz .LBB2_19
; %bb.2:
	v_mov_b32_e32 v1, s13
	v_add_co_u32_e32 v0, vcc, s12, v5
	v_addc_co_u32_e32 v1, vcc, v1, v6, vcc
	global_load_dword v8, v[0:1], off
	v_mov_b32_e32 v12, s15
	v_mov_b32_e32 v13, s9
	;; [unrolled: 1-line block ×4, first 2 shown]
	s_mov_b64 s[2:3], 0
	v_mov_b32_e32 v14, 3
	v_mov_b32_e32 v3, 0
	v_mov_b32_e32 v2, 0
	v_mov_b32_e32 v1, 0
	v_mov_b32_e32 v0, 0
	v_mov_b32_e32 v15, 4
	s_waitcnt vmcnt(0)
	v_ashrrev_i32_e32 v9, 31, v8
	v_add_u32_e32 v16, v10, v8
	v_lshlrev_b64 v[10:11], 1, v[8:9]
	v_add_co_u32_e32 v10, vcc, s14, v10
	v_addc_co_u32_e32 v11, vcc, v12, v11, vcc
	v_add_co_u32_e32 v12, vcc, s8, v8
	v_addc_co_u32_e32 v13, vcc, v13, v9, vcc
	v_mov_b32_e32 v9, 4
	s_branch .LBB2_5
.LBB2_3:                                ;   in Loop: Header=BB2_5 Depth=1
	s_or_b64 exec, exec, s[8:9]
.LBB2_4:                                ;   in Loop: Header=BB2_5 Depth=1
	s_or_b64 exec, exec, s[6:7]
	v_lshlrev_b16_e32 v19, 6, v17
	v_lshlrev_b16_e32 v20, 4, v15
	v_and_b32_e32 v19, 0xc0, v19
	v_and_b32_e32 v20, 48, v20
	v_lshlrev_b16_e32 v21, 2, v9
	v_or_b32_e32 v19, v19, v20
	v_and_b32_e32 v21, 12, v21
	v_max_i16_sdwa v20, sext(v15), v14 dst_sel:DWORD dst_unused:UNUSED_PAD src0_sel:BYTE_0 src1_sel:DWORD
	v_or_b32_e32 v19, v19, v21
	v_max_i16_sdwa v21, sext(v9), v14 dst_sel:DWORD dst_unused:UNUSED_PAD src0_sel:BYTE_0 src1_sel:DWORD
	v_and_b32_e32 v22, 3, v18
	v_max_i16_sdwa v17, sext(v17), v14 dst_sel:DWORD dst_unused:UNUSED_PAD src0_sel:BYTE_0 src1_sel:DWORD
	v_or_b32_e32 v19, v19, v22
	v_max_i16_sdwa v22, sext(v18), v14 dst_sel:DWORD dst_unused:UNUSED_PAD src0_sel:BYTE_0 src1_sel:DWORD
	v_add_u16_e32 v20, v20, v21
	v_add3_u32 v17, v17, v20, -12
	v_sub_u32_e32 v20, 0, v22
	v_cmp_eq_u32_e32 vcc, v17, v20
	v_cndmask_b32_e32 v17, -1, v19, vcc
	v_addc_co_u32_e32 v7, vcc, 0, v7, vcc
	v_add_co_u32_e32 v12, vcc, 1, v12
	v_addc_co_u32_e32 v13, vcc, 0, v13, vcc
	global_store_short v[10:11], v17, off
	v_add_co_u32_e32 v10, vcc, 2, v10
	v_add_u32_e32 v8, 1, v8
	v_addc_co_u32_e32 v11, vcc, 0, v11, vcc
	v_cmp_ge_i32_e32 vcc, v8, v16
	s_or_b64 s[2:3], vcc, s[2:3]
	v_mov_b32_e32 v17, v15
	v_mov_b32_e32 v15, v9
	;; [unrolled: 1-line block ×3, first 2 shown]
	s_andn2_b64 exec, exec, s[2:3]
	s_cbranch_execz .LBB2_18
.LBB2_5:                                ; =>This Inner Loop Header: Depth=1
	global_load_ubyte v18, v[12:13], off
	s_waitcnt vmcnt(0)
	v_cmp_lt_i16_e32 vcc, 1, v18
	s_and_saveexec_b64 s[6:7], vcc
	s_xor_b64 s[6:7], exec, s[6:7]
	s_cbranch_execz .LBB2_13
; %bb.6:                                ;   in Loop: Header=BB2_5 Depth=1
	v_cmp_lt_i16_e32 vcc, 2, v18
	s_and_saveexec_b64 s[8:9], vcc
	s_xor_b64 s[8:9], exec, s[8:9]
	s_cbranch_execz .LBB2_10
; %bb.7:                                ;   in Loop: Header=BB2_5 Depth=1
	v_cmp_eq_u16_e32 vcc, 3, v18
	s_and_saveexec_b64 s[10:11], vcc
; %bb.8:                                ;   in Loop: Header=BB2_5 Depth=1
	v_add_u32_e32 v3, 1, v3
; %bb.9:                                ;   in Loop: Header=BB2_5 Depth=1
	s_or_b64 exec, exec, s[10:11]
.LBB2_10:                               ;   in Loop: Header=BB2_5 Depth=1
	s_andn2_saveexec_b64 s[8:9], s[8:9]
; %bb.11:                               ;   in Loop: Header=BB2_5 Depth=1
	v_add_u32_e32 v2, 1, v2
; %bb.12:                               ;   in Loop: Header=BB2_5 Depth=1
	s_or_b64 exec, exec, s[8:9]
.LBB2_13:                               ;   in Loop: Header=BB2_5 Depth=1
	s_andn2_saveexec_b64 s[6:7], s[6:7]
	s_cbranch_execz .LBB2_4
; %bb.14:                               ;   in Loop: Header=BB2_5 Depth=1
	v_cmp_lt_i16_e32 vcc, 0, v18
	s_and_saveexec_b64 s[8:9], vcc
	s_xor_b64 s[8:9], exec, s[8:9]
; %bb.15:                               ;   in Loop: Header=BB2_5 Depth=1
	v_add_u32_e32 v1, 1, v1
; %bb.16:                               ;   in Loop: Header=BB2_5 Depth=1
	s_andn2_saveexec_b64 s[8:9], s[8:9]
	s_cbranch_execz .LBB2_3
; %bb.17:                               ;   in Loop: Header=BB2_5 Depth=1
	v_add_u32_e32 v0, 1, v0
	s_branch .LBB2_3
.LBB2_18:
	s_or_b64 exec, exec, s[2:3]
	v_mov_b32_e32 v8, 0
.LBB2_19:
	s_or_b64 exec, exec, s[0:1]
	s_load_dwordx4 s[0:3], s[4:5], 0x28
	v_lshlrev_b32_e32 v4, 2, v4
	s_waitcnt lgkmcnt(0)
	v_mov_b32_e32 v9, s1
	v_add_co_u32_e32 v5, vcc, s0, v5
	v_addc_co_u32_e32 v6, vcc, v9, v6, vcc
	global_store_dwordx2 v[5:6], v[7:8], off
	v_ashrrev_i32_e32 v5, 31, v4
	v_lshlrev_b64 v[4:5], 2, v[4:5]
	v_mov_b32_e32 v6, s3
	v_add_co_u32_e32 v4, vcc, s2, v4
	v_addc_co_u32_e32 v5, vcc, v6, v5, vcc
	global_store_dwordx4 v[4:5], v[0:3], off
.LBB2_20:
	s_endpgm
	.section	.rodata,"a",@progbits
	.p2align	6, 0x0
	.amdhsa_kernel _Z19kernel_createIndex4PKcPKiPKlPtS5_PlPii
		.amdhsa_group_segment_fixed_size 0
		.amdhsa_private_segment_fixed_size 0
		.amdhsa_kernarg_size 320
		.amdhsa_user_sgpr_count 6
		.amdhsa_user_sgpr_private_segment_buffer 1
		.amdhsa_user_sgpr_dispatch_ptr 0
		.amdhsa_user_sgpr_queue_ptr 0
		.amdhsa_user_sgpr_kernarg_segment_ptr 1
		.amdhsa_user_sgpr_dispatch_id 0
		.amdhsa_user_sgpr_flat_scratch_init 0
		.amdhsa_user_sgpr_private_segment_size 0
		.amdhsa_uses_dynamic_stack 0
		.amdhsa_system_sgpr_private_segment_wavefront_offset 0
		.amdhsa_system_sgpr_workgroup_id_x 1
		.amdhsa_system_sgpr_workgroup_id_y 0
		.amdhsa_system_sgpr_workgroup_id_z 0
		.amdhsa_system_sgpr_workgroup_info 0
		.amdhsa_system_vgpr_workitem_id 0
		.amdhsa_next_free_vgpr 23
		.amdhsa_next_free_sgpr 16
		.amdhsa_reserve_vcc 1
		.amdhsa_reserve_flat_scratch 0
		.amdhsa_float_round_mode_32 0
		.amdhsa_float_round_mode_16_64 0
		.amdhsa_float_denorm_mode_32 3
		.amdhsa_float_denorm_mode_16_64 3
		.amdhsa_dx10_clamp 1
		.amdhsa_ieee_mode 1
		.amdhsa_fp16_overflow 0
		.amdhsa_exception_fp_ieee_invalid_op 0
		.amdhsa_exception_fp_denorm_src 0
		.amdhsa_exception_fp_ieee_div_zero 0
		.amdhsa_exception_fp_ieee_overflow 0
		.amdhsa_exception_fp_ieee_underflow 0
		.amdhsa_exception_fp_ieee_inexact 0
		.amdhsa_exception_int_div_zero 0
	.end_amdhsa_kernel
	.text
.Lfunc_end2:
	.size	_Z19kernel_createIndex4PKcPKiPKlPtS5_PlPii, .Lfunc_end2-_Z19kernel_createIndex4PKcPKiPKlPtS5_PlPii
                                        ; -- End function
	.set _Z19kernel_createIndex4PKcPKiPKlPtS5_PlPii.num_vgpr, 23
	.set _Z19kernel_createIndex4PKcPKiPKlPtS5_PlPii.num_agpr, 0
	.set _Z19kernel_createIndex4PKcPKiPKlPtS5_PlPii.numbered_sgpr, 16
	.set _Z19kernel_createIndex4PKcPKiPKlPtS5_PlPii.num_named_barrier, 0
	.set _Z19kernel_createIndex4PKcPKiPKlPtS5_PlPii.private_seg_size, 0
	.set _Z19kernel_createIndex4PKcPKiPKlPtS5_PlPii.uses_vcc, 1
	.set _Z19kernel_createIndex4PKcPKiPKlPtS5_PlPii.uses_flat_scratch, 0
	.set _Z19kernel_createIndex4PKcPKiPKlPtS5_PlPii.has_dyn_sized_stack, 0
	.set _Z19kernel_createIndex4PKcPKiPKlPtS5_PlPii.has_recursion, 0
	.set _Z19kernel_createIndex4PKcPKiPKlPtS5_PlPii.has_indirect_call, 0
	.section	.AMDGPU.csdata,"",@progbits
; Kernel info:
; codeLenInByte = 612
; TotalNumSgprs: 20
; NumVgprs: 23
; ScratchSize: 0
; MemoryBound: 0
; FloatMode: 240
; IeeeMode: 1
; LDSByteSize: 0 bytes/workgroup (compile time only)
; SGPRBlocks: 2
; VGPRBlocks: 5
; NumSGPRsForWavesPerEU: 20
; NumVGPRsForWavesPerEU: 23
; Occupancy: 10
; WaveLimiterHint : 0
; COMPUTE_PGM_RSRC2:SCRATCH_EN: 0
; COMPUTE_PGM_RSRC2:USER_SGPR: 6
; COMPUTE_PGM_RSRC2:TRAP_HANDLER: 0
; COMPUTE_PGM_RSRC2:TGID_X_EN: 1
; COMPUTE_PGM_RSRC2:TGID_Y_EN: 0
; COMPUTE_PGM_RSRC2:TGID_Z_EN: 0
; COMPUTE_PGM_RSRC2:TIDIG_COMP_CNT: 0
	.text
	.protected	_Z19kernel_createIndex5PKcPKiPKlPtS5_PlPii ; -- Begin function _Z19kernel_createIndex5PKcPKiPKlPtS5_PlPii
	.globl	_Z19kernel_createIndex5PKcPKiPKlPtS5_PlPii
	.p2align	8
	.type	_Z19kernel_createIndex5PKcPKiPKlPtS5_PlPii,@function
_Z19kernel_createIndex5PKcPKiPKlPtS5_PlPii: ; @_Z19kernel_createIndex5PKcPKiPKlPtS5_PlPii
; %bb.0:
	s_load_dword s0, s[4:5], 0x4c
	s_load_dword s1, s[4:5], 0x38
	s_waitcnt lgkmcnt(0)
	s_and_b32 s0, s0, 0xffff
	s_mul_i32 s6, s6, s0
	v_add_u32_e32 v4, s6, v0
	v_cmp_gt_i32_e32 vcc, s1, v4
	s_and_saveexec_b64 s[0:1], vcc
	s_cbranch_execz .LBB3_20
; %bb.1:
	s_load_dwordx8 s[8:15], s[4:5], 0x0
	v_ashrrev_i32_e32 v5, 31, v4
	v_lshlrev_b64 v[0:1], 2, v[4:5]
	v_mov_b32_e32 v8, 0
	v_lshlrev_b64 v[5:6], 3, v[4:5]
	s_waitcnt lgkmcnt(0)
	v_mov_b32_e32 v2, s11
	v_add_co_u32_e32 v0, vcc, s10, v0
	v_addc_co_u32_e32 v1, vcc, v2, v1, vcc
	global_load_dword v10, v[0:1], off
	v_mov_b32_e32 v3, 0
	v_mov_b32_e32 v9, 0
	;; [unrolled: 1-line block ×5, first 2 shown]
	s_waitcnt vmcnt(0)
	v_cmp_lt_i32_e32 vcc, 0, v10
	s_and_saveexec_b64 s[0:1], vcc
	s_cbranch_execz .LBB3_19
; %bb.2:
	v_mov_b32_e32 v1, s13
	v_add_co_u32_e32 v0, vcc, s12, v5
	v_addc_co_u32_e32 v1, vcc, v1, v6, vcc
	global_load_dword v7, v[0:1], off
	v_mov_b32_e32 v21, s9
	v_mov_b32_e32 v22, s15
	;; [unrolled: 1-line block ×3, first 2 shown]
	s_mov_b64 s[2:3], 0
	s_mov_b32 s12, 0xc0c0004
	v_mov_b32_e32 v13, 3
	v_mov_b32_e32 v14, 8
	;; [unrolled: 1-line block ×10, first 2 shown]
	s_waitcnt vmcnt(0)
	v_ashrrev_i32_e32 v8, 31, v7
	v_lshlrev_b64 v[11:12], 1, v[7:8]
	v_add_co_u32_e32 v9, vcc, s8, v7
	v_add_u32_e32 v17, v10, v7
	v_addc_co_u32_e32 v10, vcc, v21, v8, vcc
	v_add_co_u32_e32 v11, vcc, s14, v11
	v_addc_co_u32_e32 v12, vcc, v22, v12, vcc
	v_mov_b32_e32 v8, 0
	s_branch .LBB3_5
.LBB3_3:                                ;   in Loop: Header=BB3_5 Depth=1
	s_or_b64 exec, exec, s[8:9]
.LBB3_4:                                ;   in Loop: Header=BB3_5 Depth=1
	s_or_b64 exec, exec, s[6:7]
	v_lshlrev_b16_e32 v22, 8, v18
	v_or_b32_sdwa v22, v16, v22 dst_sel:DWORD dst_unused:UNUSED_PAD src0_sel:BYTE_0 src1_sel:DWORD
	v_perm_b32 v20, v20, v15, s12
	v_lshlrev_b32_e32 v23, 16, v22
	v_or_b32_e32 v20, v20, v23
	v_lshrrev_b32_e32 v23, 24, v23
	v_max_i16_sdwa v22, sext(v22), v13 dst_sel:DWORD dst_unused:UNUSED_PAD src0_sel:BYTE_0 src1_sel:DWORD
	v_max_i16_sdwa v24, sext(v23), v13 dst_sel:DWORD dst_unused:UNUSED_PAD src0_sel:BYTE_0 src1_sel:DWORD
	v_lshrrev_b32_e32 v20, 8, v20
	v_add_u16_e32 v22, v22, v24
	v_max_i16_sdwa v24, sext(v20), v13 dst_sel:DWORD dst_unused:UNUSED_PAD src0_sel:BYTE_0 src1_sel:DWORD
	v_lshlrev_b16_e32 v20, 8, v20
	v_lshlrev_b16_e32 v25, 6, v16
	v_and_b32_e32 v20, 0x300, v20
	v_and_b32_e32 v25, 0xc0, v25
	v_lshlrev_b16_e32 v23, 4, v23
	v_or_b32_e32 v20, v20, v25
	v_and_b32_e32 v23, 48, v23
	v_add_u32_e32 v22, v24, v22
	v_max_i16_sdwa v24, sext(v21), v13 dst_sel:DWORD dst_unused:UNUSED_PAD src0_sel:BYTE_0 src1_sel:DWORD
	v_or_b32_e32 v20, v20, v23
	v_lshlrev_b16_e32 v23, 2, v21
	v_add3_u32 v22, v22, v24, -15
	v_max_i16_sdwa v24, sext(v19), v13 dst_sel:DWORD dst_unused:UNUSED_PAD src0_sel:BYTE_0 src1_sel:DWORD
	v_and_b32_e32 v23, 12, v23
	v_sub_u32_e32 v24, 0, v24
	v_or_b32_e32 v20, v20, v23
	v_and_b32_e32 v23, 3, v19
	v_or_b32_e32 v20, v20, v23
	v_cmp_eq_u32_e32 vcc, v22, v24
	v_cndmask_b32_e32 v20, -1, v20, vcc
	v_addc_co_u32_e32 v8, vcc, 0, v8, vcc
	global_store_short v[11:12], v20, off
	v_lshlrev_b16_e32 v20, 8, v16
	v_lshlrev_b16_e32 v16, 8, v21
	v_add_co_u32_e32 v9, vcc, 1, v9
	v_or_b32_sdwa v16, v18, v16 dst_sel:DWORD dst_unused:UNUSED_PAD src0_sel:BYTE_0 src1_sel:DWORD
	v_add_u32_e32 v7, 1, v7
	v_lshrrev_b32_sdwa v18, v14, v20 dst_sel:BYTE_1 dst_unused:UNUSED_PAD src0_sel:DWORD src1_sel:DWORD
	v_addc_co_u32_e32 v10, vcc, 0, v10, vcc
	v_or_b32_sdwa v20, v15, v18 dst_sel:DWORD dst_unused:UNUSED_PAD src0_sel:BYTE_0 src1_sel:DWORD
	v_lshlrev_b32_e32 v15, 16, v16
	v_cmp_ge_i32_e32 vcc, v7, v17
	v_or_b32_e32 v21, v18, v15
	s_or_b64 s[2:3], vcc, s[2:3]
	v_add_co_u32_e32 v11, vcc, 2, v11
	v_lshrrev_b32_e32 v18, 24, v15
	v_lshrrev_b32_e32 v15, 8, v21
	v_addc_co_u32_e32 v12, vcc, 0, v12, vcc
	s_andn2_b64 exec, exec, s[2:3]
	s_cbranch_execz .LBB3_18
.LBB3_5:                                ; =>This Inner Loop Header: Depth=1
	v_mov_b32_e32 v21, v19
	global_load_ubyte v19, v[9:10], off
	s_waitcnt vmcnt(0)
	v_cmp_lt_i16_e32 vcc, 1, v19
	s_and_saveexec_b64 s[6:7], vcc
	s_xor_b64 s[6:7], exec, s[6:7]
	s_cbranch_execz .LBB3_13
; %bb.6:                                ;   in Loop: Header=BB3_5 Depth=1
	v_cmp_lt_i16_e32 vcc, 2, v19
	s_and_saveexec_b64 s[8:9], vcc
	s_xor_b64 s[8:9], exec, s[8:9]
	s_cbranch_execz .LBB3_10
; %bb.7:                                ;   in Loop: Header=BB3_5 Depth=1
	v_cmp_eq_u16_e32 vcc, 3, v19
	s_and_saveexec_b64 s[10:11], vcc
; %bb.8:                                ;   in Loop: Header=BB3_5 Depth=1
	v_add_u32_e32 v3, 1, v3
; %bb.9:                                ;   in Loop: Header=BB3_5 Depth=1
	s_or_b64 exec, exec, s[10:11]
.LBB3_10:                               ;   in Loop: Header=BB3_5 Depth=1
	s_andn2_saveexec_b64 s[8:9], s[8:9]
; %bb.11:                               ;   in Loop: Header=BB3_5 Depth=1
	v_add_u32_e32 v2, 1, v2
; %bb.12:                               ;   in Loop: Header=BB3_5 Depth=1
	s_or_b64 exec, exec, s[8:9]
.LBB3_13:                               ;   in Loop: Header=BB3_5 Depth=1
	s_andn2_saveexec_b64 s[6:7], s[6:7]
	s_cbranch_execz .LBB3_4
; %bb.14:                               ;   in Loop: Header=BB3_5 Depth=1
	v_cmp_lt_i16_e32 vcc, 0, v19
	s_and_saveexec_b64 s[8:9], vcc
	s_xor_b64 s[8:9], exec, s[8:9]
; %bb.15:                               ;   in Loop: Header=BB3_5 Depth=1
	v_add_u32_e32 v1, 1, v1
; %bb.16:                               ;   in Loop: Header=BB3_5 Depth=1
	s_andn2_saveexec_b64 s[8:9], s[8:9]
	s_cbranch_execz .LBB3_3
; %bb.17:                               ;   in Loop: Header=BB3_5 Depth=1
	v_add_u32_e32 v0, 1, v0
	s_branch .LBB3_3
.LBB3_18:
	s_or_b64 exec, exec, s[2:3]
	v_mov_b32_e32 v9, 0
.LBB3_19:
	s_or_b64 exec, exec, s[0:1]
	s_load_dwordx4 s[0:3], s[4:5], 0x28
	v_lshlrev_b32_e32 v4, 2, v4
	s_waitcnt lgkmcnt(0)
	v_mov_b32_e32 v7, s1
	v_add_co_u32_e32 v5, vcc, s0, v5
	v_addc_co_u32_e32 v6, vcc, v7, v6, vcc
	global_store_dwordx2 v[5:6], v[8:9], off
	v_ashrrev_i32_e32 v5, 31, v4
	v_lshlrev_b64 v[4:5], 2, v[4:5]
	v_mov_b32_e32 v6, s3
	v_add_co_u32_e32 v4, vcc, s2, v4
	v_addc_co_u32_e32 v5, vcc, v6, v5, vcc
	global_store_dwordx4 v[4:5], v[0:3], off
.LBB3_20:
	s_endpgm
	.section	.rodata,"a",@progbits
	.p2align	6, 0x0
	.amdhsa_kernel _Z19kernel_createIndex5PKcPKiPKlPtS5_PlPii
		.amdhsa_group_segment_fixed_size 0
		.amdhsa_private_segment_fixed_size 0
		.amdhsa_kernarg_size 320
		.amdhsa_user_sgpr_count 6
		.amdhsa_user_sgpr_private_segment_buffer 1
		.amdhsa_user_sgpr_dispatch_ptr 0
		.amdhsa_user_sgpr_queue_ptr 0
		.amdhsa_user_sgpr_kernarg_segment_ptr 1
		.amdhsa_user_sgpr_dispatch_id 0
		.amdhsa_user_sgpr_flat_scratch_init 0
		.amdhsa_user_sgpr_private_segment_size 0
		.amdhsa_uses_dynamic_stack 0
		.amdhsa_system_sgpr_private_segment_wavefront_offset 0
		.amdhsa_system_sgpr_workgroup_id_x 1
		.amdhsa_system_sgpr_workgroup_id_y 0
		.amdhsa_system_sgpr_workgroup_id_z 0
		.amdhsa_system_sgpr_workgroup_info 0
		.amdhsa_system_vgpr_workitem_id 0
		.amdhsa_next_free_vgpr 26
		.amdhsa_next_free_sgpr 16
		.amdhsa_reserve_vcc 1
		.amdhsa_reserve_flat_scratch 0
		.amdhsa_float_round_mode_32 0
		.amdhsa_float_round_mode_16_64 0
		.amdhsa_float_denorm_mode_32 3
		.amdhsa_float_denorm_mode_16_64 3
		.amdhsa_dx10_clamp 1
		.amdhsa_ieee_mode 1
		.amdhsa_fp16_overflow 0
		.amdhsa_exception_fp_ieee_invalid_op 0
		.amdhsa_exception_fp_denorm_src 0
		.amdhsa_exception_fp_ieee_div_zero 0
		.amdhsa_exception_fp_ieee_overflow 0
		.amdhsa_exception_fp_ieee_underflow 0
		.amdhsa_exception_fp_ieee_inexact 0
		.amdhsa_exception_int_div_zero 0
	.end_amdhsa_kernel
	.text
.Lfunc_end3:
	.size	_Z19kernel_createIndex5PKcPKiPKlPtS5_PlPii, .Lfunc_end3-_Z19kernel_createIndex5PKcPKiPKlPtS5_PlPii
                                        ; -- End function
	.set _Z19kernel_createIndex5PKcPKiPKlPtS5_PlPii.num_vgpr, 26
	.set _Z19kernel_createIndex5PKcPKiPKlPtS5_PlPii.num_agpr, 0
	.set _Z19kernel_createIndex5PKcPKiPKlPtS5_PlPii.numbered_sgpr, 16
	.set _Z19kernel_createIndex5PKcPKiPKlPtS5_PlPii.num_named_barrier, 0
	.set _Z19kernel_createIndex5PKcPKiPKlPtS5_PlPii.private_seg_size, 0
	.set _Z19kernel_createIndex5PKcPKiPKlPtS5_PlPii.uses_vcc, 1
	.set _Z19kernel_createIndex5PKcPKiPKlPtS5_PlPii.uses_flat_scratch, 0
	.set _Z19kernel_createIndex5PKcPKiPKlPtS5_PlPii.has_dyn_sized_stack, 0
	.set _Z19kernel_createIndex5PKcPKiPKlPtS5_PlPii.has_recursion, 0
	.set _Z19kernel_createIndex5PKcPKiPKlPtS5_PlPii.has_indirect_call, 0
	.section	.AMDGPU.csdata,"",@progbits
; Kernel info:
; codeLenInByte = 736
; TotalNumSgprs: 20
; NumVgprs: 26
; ScratchSize: 0
; MemoryBound: 0
; FloatMode: 240
; IeeeMode: 1
; LDSByteSize: 0 bytes/workgroup (compile time only)
; SGPRBlocks: 2
; VGPRBlocks: 6
; NumSGPRsForWavesPerEU: 20
; NumVGPRsForWavesPerEU: 26
; Occupancy: 9
; WaveLimiterHint : 0
; COMPUTE_PGM_RSRC2:SCRATCH_EN: 0
; COMPUTE_PGM_RSRC2:USER_SGPR: 6
; COMPUTE_PGM_RSRC2:TRAP_HANDLER: 0
; COMPUTE_PGM_RSRC2:TGID_X_EN: 1
; COMPUTE_PGM_RSRC2:TGID_Y_EN: 0
; COMPUTE_PGM_RSRC2:TGID_Z_EN: 0
; COMPUTE_PGM_RSRC2:TIDIG_COMP_CNT: 0
	.text
	.protected	_Z19kernel_createIndex6PKcPKiPKlPtS5_PlPii ; -- Begin function _Z19kernel_createIndex6PKcPKiPKlPtS5_PlPii
	.globl	_Z19kernel_createIndex6PKcPKiPKlPtS5_PlPii
	.p2align	8
	.type	_Z19kernel_createIndex6PKcPKiPKlPtS5_PlPii,@function
_Z19kernel_createIndex6PKcPKiPKlPtS5_PlPii: ; @_Z19kernel_createIndex6PKcPKiPKlPtS5_PlPii
; %bb.0:
	s_load_dword s0, s[4:5], 0x4c
	s_load_dword s1, s[4:5], 0x38
	s_waitcnt lgkmcnt(0)
	s_and_b32 s0, s0, 0xffff
	s_mul_i32 s6, s6, s0
	v_add_u32_e32 v4, s6, v0
	v_cmp_gt_i32_e32 vcc, s1, v4
	s_and_saveexec_b64 s[0:1], vcc
	s_cbranch_execz .LBB4_20
; %bb.1:
	s_load_dwordx8 s[8:15], s[4:5], 0x0
	v_ashrrev_i32_e32 v5, 31, v4
	v_lshlrev_b64 v[0:1], 2, v[4:5]
	v_mov_b32_e32 v8, 0
	v_lshlrev_b64 v[5:6], 3, v[4:5]
	s_waitcnt lgkmcnt(0)
	v_mov_b32_e32 v2, s11
	v_add_co_u32_e32 v0, vcc, s10, v0
	v_addc_co_u32_e32 v1, vcc, v2, v1, vcc
	global_load_dword v10, v[0:1], off
	v_mov_b32_e32 v3, 0
	v_mov_b32_e32 v9, 0
	;; [unrolled: 1-line block ×5, first 2 shown]
	s_waitcnt vmcnt(0)
	v_cmp_lt_i32_e32 vcc, 0, v10
	s_and_saveexec_b64 s[0:1], vcc
	s_cbranch_execz .LBB4_19
; %bb.2:
	v_mov_b32_e32 v1, s13
	v_add_co_u32_e32 v0, vcc, s12, v5
	v_addc_co_u32_e32 v1, vcc, v1, v6, vcc
	global_load_dword v7, v[0:1], off
	v_mov_b32_e32 v18, s9
	v_mov_b32_e32 v23, s15
	;; [unrolled: 1-line block ×3, first 2 shown]
	s_mov_b64 s[2:3], 0
	s_mov_b32 s12, 0xc0c0004
	s_mov_b32 s13, 0x5040100
	;; [unrolled: 1-line block ×3, first 2 shown]
	s_movk_i32 s16, 0xffee
	v_mov_b32_e32 v13, 3
	v_mov_b32_e32 v14, 8
	;; [unrolled: 1-line block ×11, first 2 shown]
	s_waitcnt vmcnt(0)
	v_ashrrev_i32_e32 v8, 31, v7
	v_lshlrev_b64 v[11:12], 1, v[7:8]
	v_add_co_u32_e32 v9, vcc, s8, v7
	v_add_u32_e32 v15, v10, v7
	v_addc_co_u32_e32 v10, vcc, v18, v8, vcc
	v_add_co_u32_e32 v11, vcc, s14, v11
	v_addc_co_u32_e32 v12, vcc, v23, v12, vcc
	v_mov_b32_e32 v8, 0
	s_branch .LBB4_5
.LBB4_3:                                ;   in Loop: Header=BB4_5 Depth=1
	s_or_b64 exec, exec, s[8:9]
.LBB4_4:                                ;   in Loop: Header=BB4_5 Depth=1
	s_or_b64 exec, exec, s[6:7]
	v_lshlrev_b16_e32 v23, 8, v17
	v_or_b32_sdwa v23, v16, v23 dst_sel:DWORD dst_unused:UNUSED_PAD src0_sel:BYTE_0 src1_sel:DWORD
	v_perm_b32 v22, v22, v20, s12
	v_lshlrev_b32_e32 v24, 16, v23
	v_or_b32_e32 v22, v22, v24
	v_lshrrev_b32_e32 v24, 24, v24
	v_max_i16_sdwa v23, sext(v23), v13 dst_sel:DWORD dst_unused:UNUSED_PAD src0_sel:BYTE_0 src1_sel:DWORD
	v_max_i16_sdwa v25, sext(v24), v13 dst_sel:DWORD dst_unused:UNUSED_PAD src0_sel:BYTE_0 src1_sel:DWORD
	v_lshrrev_b32_e32 v22, 8, v22
	v_add_u16_e32 v23, v23, v25
	v_max_i16_sdwa v25, sext(v22), v13 dst_sel:DWORD dst_unused:UNUSED_PAD src0_sel:BYTE_0 src1_sel:DWORD
	v_perm_b32 v20, v20, v16, s12
	v_lshlrev_b16_e32 v22, 10, v22
	v_lshlrev_b16_e32 v16, 8, v16
	v_and_b32_e32 v22, 0xc00, v22
	v_and_b32_e32 v16, 0x300, v16
	v_or_b32_e32 v16, v22, v16
	v_lshlrev_b16_e32 v22, 6, v24
	v_and_b32_e32 v22, 0xc0, v22
	v_or_b32_e32 v16, v16, v22
	v_perm_b32 v22, v18, v21, s13
	v_add_u32_e32 v23, v25, v23
	v_max_i16_sdwa v25, sext(v21), v13 dst_sel:DWORD dst_unused:UNUSED_PAD src0_sel:BYTE_0 src1_sel:DWORD
	v_max_i16_sdwa v26, sext(v18), v13 dst_sel:DWORD dst_unused:UNUSED_PAD src0_sel:BYTE_0 src1_sel:DWORD
	v_pk_lshlrev_b16 v22, s15, v22
	v_add_u16_e32 v25, v25, v26
	v_and_b32_e32 v22, 0xc0030, v22
	v_add3_u32 v23, v23, v25, s16
	v_max_i16_sdwa v25, sext(v19), v13 dst_sel:DWORD dst_unused:UNUSED_PAD src0_sel:BYTE_0 src1_sel:DWORD
	v_or_b32_e32 v16, v16, v22
	v_sub_u32_e32 v25, 0, v25
	v_or_b32_sdwa v16, v16, v22 dst_sel:DWORD dst_unused:UNUSED_PAD src0_sel:DWORD src1_sel:WORD_1
	v_and_b32_e32 v22, 3, v19
	v_or_b32_e32 v16, v16, v22
	v_cmp_eq_u32_e32 vcc, v23, v25
	v_cndmask_b32_e32 v16, -1, v16, vcc
	v_addc_co_u32_e32 v8, vcc, 0, v8, vcc
	v_perm_b32 v17, v17, v21, s12
	v_add_co_u32_e32 v9, vcc, 1, v9
	global_store_short v[11:12], v16, off
	v_lshrrev_b32_sdwa v16, v14, v17 dst_sel:BYTE_1 dst_unused:UNUSED_PAD src0_sel:DWORD src1_sel:DWORD
	v_addc_co_u32_e32 v10, vcc, 0, v10, vcc
	v_or_b32_sdwa v16, v17, v16 dst_sel:DWORD dst_unused:UNUSED_PAD src0_sel:BYTE_0 src1_sel:DWORD
	v_lshrrev_b32_sdwa v17, v14, v20 dst_sel:BYTE_1 dst_unused:UNUSED_PAD src0_sel:DWORD src1_sel:DWORD
	v_add_co_u32_e32 v11, vcc, 2, v11
	v_add_u32_e32 v7, 1, v7
	v_or_b32_sdwa v22, v20, v17 dst_sel:DWORD dst_unused:UNUSED_PAD src0_sel:BYTE_0 src1_sel:DWORD
	v_lshlrev_b32_e32 v20, 16, v16
	v_addc_co_u32_e32 v12, vcc, 0, v12, vcc
	v_or_b32_e32 v21, v17, v20
	v_cmp_ge_i32_e32 vcc, v7, v15
	v_lshrrev_b32_e32 v17, 24, v20
	v_lshrrev_b32_e32 v20, 8, v21
	s_or_b64 s[2:3], vcc, s[2:3]
	v_mov_b32_e32 v21, v18
	s_andn2_b64 exec, exec, s[2:3]
	s_cbranch_execz .LBB4_18
.LBB4_5:                                ; =>This Inner Loop Header: Depth=1
	v_mov_b32_e32 v18, v19
	global_load_ubyte v19, v[9:10], off
	s_waitcnt vmcnt(0)
	v_cmp_lt_i16_e32 vcc, 1, v19
	s_and_saveexec_b64 s[6:7], vcc
	s_xor_b64 s[6:7], exec, s[6:7]
	s_cbranch_execz .LBB4_13
; %bb.6:                                ;   in Loop: Header=BB4_5 Depth=1
	v_cmp_lt_i16_e32 vcc, 2, v19
	s_and_saveexec_b64 s[8:9], vcc
	s_xor_b64 s[8:9], exec, s[8:9]
	s_cbranch_execz .LBB4_10
; %bb.7:                                ;   in Loop: Header=BB4_5 Depth=1
	v_cmp_eq_u16_e32 vcc, 3, v19
	s_and_saveexec_b64 s[10:11], vcc
; %bb.8:                                ;   in Loop: Header=BB4_5 Depth=1
	v_add_u32_e32 v3, 1, v3
; %bb.9:                                ;   in Loop: Header=BB4_5 Depth=1
	s_or_b64 exec, exec, s[10:11]
.LBB4_10:                               ;   in Loop: Header=BB4_5 Depth=1
	s_andn2_saveexec_b64 s[8:9], s[8:9]
; %bb.11:                               ;   in Loop: Header=BB4_5 Depth=1
	v_add_u32_e32 v2, 1, v2
; %bb.12:                               ;   in Loop: Header=BB4_5 Depth=1
	s_or_b64 exec, exec, s[8:9]
.LBB4_13:                               ;   in Loop: Header=BB4_5 Depth=1
	s_andn2_saveexec_b64 s[6:7], s[6:7]
	s_cbranch_execz .LBB4_4
; %bb.14:                               ;   in Loop: Header=BB4_5 Depth=1
	v_cmp_lt_i16_e32 vcc, 0, v19
	s_and_saveexec_b64 s[8:9], vcc
	s_xor_b64 s[8:9], exec, s[8:9]
; %bb.15:                               ;   in Loop: Header=BB4_5 Depth=1
	v_add_u32_e32 v1, 1, v1
; %bb.16:                               ;   in Loop: Header=BB4_5 Depth=1
	s_andn2_saveexec_b64 s[8:9], s[8:9]
	s_cbranch_execz .LBB4_3
; %bb.17:                               ;   in Loop: Header=BB4_5 Depth=1
	v_add_u32_e32 v0, 1, v0
	s_branch .LBB4_3
.LBB4_18:
	s_or_b64 exec, exec, s[2:3]
	v_mov_b32_e32 v9, 0
.LBB4_19:
	s_or_b64 exec, exec, s[0:1]
	s_load_dwordx4 s[0:3], s[4:5], 0x28
	v_lshlrev_b32_e32 v4, 2, v4
	s_waitcnt lgkmcnt(0)
	v_mov_b32_e32 v7, s1
	v_add_co_u32_e32 v5, vcc, s0, v5
	v_addc_co_u32_e32 v6, vcc, v7, v6, vcc
	global_store_dwordx2 v[5:6], v[8:9], off
	v_ashrrev_i32_e32 v5, 31, v4
	v_lshlrev_b64 v[4:5], 2, v[4:5]
	v_mov_b32_e32 v6, s3
	v_add_co_u32_e32 v4, vcc, s2, v4
	v_addc_co_u32_e32 v5, vcc, v6, v5, vcc
	global_store_dwordx4 v[4:5], v[0:3], off
.LBB4_20:
	s_endpgm
	.section	.rodata,"a",@progbits
	.p2align	6, 0x0
	.amdhsa_kernel _Z19kernel_createIndex6PKcPKiPKlPtS5_PlPii
		.amdhsa_group_segment_fixed_size 0
		.amdhsa_private_segment_fixed_size 0
		.amdhsa_kernarg_size 320
		.amdhsa_user_sgpr_count 6
		.amdhsa_user_sgpr_private_segment_buffer 1
		.amdhsa_user_sgpr_dispatch_ptr 0
		.amdhsa_user_sgpr_queue_ptr 0
		.amdhsa_user_sgpr_kernarg_segment_ptr 1
		.amdhsa_user_sgpr_dispatch_id 0
		.amdhsa_user_sgpr_flat_scratch_init 0
		.amdhsa_user_sgpr_private_segment_size 0
		.amdhsa_uses_dynamic_stack 0
		.amdhsa_system_sgpr_private_segment_wavefront_offset 0
		.amdhsa_system_sgpr_workgroup_id_x 1
		.amdhsa_system_sgpr_workgroup_id_y 0
		.amdhsa_system_sgpr_workgroup_id_z 0
		.amdhsa_system_sgpr_workgroup_info 0
		.amdhsa_system_vgpr_workitem_id 0
		.amdhsa_next_free_vgpr 27
		.amdhsa_next_free_sgpr 17
		.amdhsa_reserve_vcc 1
		.amdhsa_reserve_flat_scratch 0
		.amdhsa_float_round_mode_32 0
		.amdhsa_float_round_mode_16_64 0
		.amdhsa_float_denorm_mode_32 3
		.amdhsa_float_denorm_mode_16_64 3
		.amdhsa_dx10_clamp 1
		.amdhsa_ieee_mode 1
		.amdhsa_fp16_overflow 0
		.amdhsa_exception_fp_ieee_invalid_op 0
		.amdhsa_exception_fp_denorm_src 0
		.amdhsa_exception_fp_ieee_div_zero 0
		.amdhsa_exception_fp_ieee_overflow 0
		.amdhsa_exception_fp_ieee_underflow 0
		.amdhsa_exception_fp_ieee_inexact 0
		.amdhsa_exception_int_div_zero 0
	.end_amdhsa_kernel
	.text
.Lfunc_end4:
	.size	_Z19kernel_createIndex6PKcPKiPKlPtS5_PlPii, .Lfunc_end4-_Z19kernel_createIndex6PKcPKiPKlPtS5_PlPii
                                        ; -- End function
	.set _Z19kernel_createIndex6PKcPKiPKlPtS5_PlPii.num_vgpr, 27
	.set _Z19kernel_createIndex6PKcPKiPKlPtS5_PlPii.num_agpr, 0
	.set _Z19kernel_createIndex6PKcPKiPKlPtS5_PlPii.numbered_sgpr, 17
	.set _Z19kernel_createIndex6PKcPKiPKlPtS5_PlPii.num_named_barrier, 0
	.set _Z19kernel_createIndex6PKcPKiPKlPtS5_PlPii.private_seg_size, 0
	.set _Z19kernel_createIndex6PKcPKiPKlPtS5_PlPii.uses_vcc, 1
	.set _Z19kernel_createIndex6PKcPKiPKlPtS5_PlPii.uses_flat_scratch, 0
	.set _Z19kernel_createIndex6PKcPKiPKlPtS5_PlPii.has_dyn_sized_stack, 0
	.set _Z19kernel_createIndex6PKcPKiPKlPtS5_PlPii.has_recursion, 0
	.set _Z19kernel_createIndex6PKcPKiPKlPtS5_PlPii.has_indirect_call, 0
	.section	.AMDGPU.csdata,"",@progbits
; Kernel info:
; codeLenInByte = 820
; TotalNumSgprs: 21
; NumVgprs: 27
; ScratchSize: 0
; MemoryBound: 0
; FloatMode: 240
; IeeeMode: 1
; LDSByteSize: 0 bytes/workgroup (compile time only)
; SGPRBlocks: 2
; VGPRBlocks: 6
; NumSGPRsForWavesPerEU: 21
; NumVGPRsForWavesPerEU: 27
; Occupancy: 9
; WaveLimiterHint : 0
; COMPUTE_PGM_RSRC2:SCRATCH_EN: 0
; COMPUTE_PGM_RSRC2:USER_SGPR: 6
; COMPUTE_PGM_RSRC2:TRAP_HANDLER: 0
; COMPUTE_PGM_RSRC2:TGID_X_EN: 1
; COMPUTE_PGM_RSRC2:TGID_Y_EN: 0
; COMPUTE_PGM_RSRC2:TGID_Z_EN: 0
; COMPUTE_PGM_RSRC2:TIDIG_COMP_CNT: 0
	.text
	.protected	_Z19kernel_createIndex7PKcPKiPKlPtS5_PlPii ; -- Begin function _Z19kernel_createIndex7PKcPKiPKlPtS5_PlPii
	.globl	_Z19kernel_createIndex7PKcPKiPKlPtS5_PlPii
	.p2align	8
	.type	_Z19kernel_createIndex7PKcPKiPKlPtS5_PlPii,@function
_Z19kernel_createIndex7PKcPKiPKlPtS5_PlPii: ; @_Z19kernel_createIndex7PKcPKiPKlPtS5_PlPii
; %bb.0:
	s_load_dword s0, s[4:5], 0x4c
	s_load_dword s1, s[4:5], 0x38
	s_waitcnt lgkmcnt(0)
	s_and_b32 s0, s0, 0xffff
	s_mul_i32 s6, s6, s0
	v_add_u32_e32 v4, s6, v0
	v_cmp_gt_i32_e32 vcc, s1, v4
	s_and_saveexec_b64 s[0:1], vcc
	s_cbranch_execz .LBB5_20
; %bb.1:
	s_load_dwordx8 s[8:15], s[4:5], 0x0
	v_ashrrev_i32_e32 v5, 31, v4
	v_lshlrev_b64 v[0:1], 2, v[4:5]
	v_mov_b32_e32 v8, 0
	v_lshlrev_b64 v[5:6], 3, v[4:5]
	s_waitcnt lgkmcnt(0)
	v_mov_b32_e32 v2, s11
	v_add_co_u32_e32 v0, vcc, s10, v0
	v_addc_co_u32_e32 v1, vcc, v2, v1, vcc
	global_load_dword v10, v[0:1], off
	v_mov_b32_e32 v3, 0
	v_mov_b32_e32 v9, 0
	;; [unrolled: 1-line block ×5, first 2 shown]
	s_waitcnt vmcnt(0)
	v_cmp_lt_i32_e32 vcc, 0, v10
	s_and_saveexec_b64 s[0:1], vcc
	s_cbranch_execz .LBB5_19
; %bb.2:
	v_mov_b32_e32 v1, s13
	v_add_co_u32_e32 v0, vcc, s12, v5
	v_addc_co_u32_e32 v1, vcc, v1, v6, vcc
	global_load_dword v7, v[0:1], off
	v_mov_b32_e32 v11, s15
	v_mov_b32_e32 v12, s9
	;; [unrolled: 1-line block ×3, first 2 shown]
	s_mov_b64 s[2:3], 0
	s_mov_b32 s12, 0xc0c0004
	s_mov_b32 s13, 0x5040100
	;; [unrolled: 1-line block ×3, first 2 shown]
	s_movk_i32 s16, 0xffeb
	v_mov_b32_e32 v13, 3
	v_mov_b32_e32 v14, 8
	v_mov_b32_e32 v3, 0
	v_mov_b32_e32 v2, 0
	v_mov_b32_e32 v1, 0
	v_mov_b32_e32 v0, 0
	v_mov_b32_e32 v23, 4
	v_mov_b32_e32 v22, 4
	v_mov_b32_e32 v19, 4
	v_mov_b32_e32 v21, 4
	v_mov_b32_e32 v15, 4
	v_mov_b32_e32 v18, 4
	s_waitcnt vmcnt(0)
	v_ashrrev_i32_e32 v8, 31, v7
	v_add_u32_e32 v16, v10, v7
	v_lshlrev_b64 v[9:10], 1, v[7:8]
	v_add_co_u32_e32 v9, vcc, s14, v9
	v_addc_co_u32_e32 v10, vcc, v11, v10, vcc
	v_add_co_u32_e32 v11, vcc, s8, v7
	v_addc_co_u32_e32 v12, vcc, v12, v8, vcc
	v_mov_b32_e32 v8, 0
	s_branch .LBB5_5
.LBB5_3:                                ;   in Loop: Header=BB5_5 Depth=1
	s_or_b64 exec, exec, s[8:9]
.LBB5_4:                                ;   in Loop: Header=BB5_5 Depth=1
	s_or_b64 exec, exec, s[6:7]
	v_lshlrev_b16_e32 v24, 8, v19
	v_or_b32_sdwa v24, v22, v24 dst_sel:DWORD dst_unused:UNUSED_PAD src0_sel:BYTE_0 src1_sel:DWORD
	v_perm_b32 v20, v20, v23, s12
	v_lshlrev_b32_e32 v25, 16, v24
	v_or_b32_e32 v20, v20, v25
	v_lshrrev_b32_e32 v20, 8, v20
	v_perm_b32 v23, v23, v22, s12
	v_lshlrev_b16_e32 v26, 12, v20
	v_lshlrev_b16_e32 v22, 10, v22
	v_and_b32_e32 v26, 0x3000, v26
	v_and_b32_e32 v22, 0xc00, v22
	v_lshrrev_b32_e32 v25, 24, v25
	v_or_b32_e32 v22, v26, v22
	v_lshlrev_b16_e32 v26, 8, v25
	v_and_b32_e32 v26, 0x300, v26
	v_or_b32_e32 v22, v22, v26
	v_perm_b32 v26, v15, v21, s13
	v_pk_lshlrev_b16 v26, s15, v26
	v_max_i16_sdwa v24, sext(v24), v13 dst_sel:DWORD dst_unused:UNUSED_PAD src0_sel:BYTE_0 src1_sel:DWORD
	v_max_i16_sdwa v25, sext(v25), v13 dst_sel:DWORD dst_unused:UNUSED_PAD src0_sel:BYTE_0 src1_sel:DWORD
	v_and_b32_e32 v26, 0x3000c0, v26
	v_add_u16_e32 v24, v24, v25
	v_max_i16_sdwa v20, sext(v20), v13 dst_sel:DWORD dst_unused:UNUSED_PAD src0_sel:BYTE_0 src1_sel:DWORD
	v_or_b32_e32 v22, v22, v26
	v_perm_b32 v19, v19, v21, s12
	v_max_i16_sdwa v21, sext(v21), v13 dst_sel:DWORD dst_unused:UNUSED_PAD src0_sel:BYTE_0 src1_sel:DWORD
	v_add_u32_e32 v20, v20, v24
	v_max_i16_sdwa v24, sext(v15), v13 dst_sel:DWORD dst_unused:UNUSED_PAD src0_sel:BYTE_0 src1_sel:DWORD
	v_or_b32_sdwa v22, v22, v26 dst_sel:DWORD dst_unused:UNUSED_PAD src0_sel:DWORD src1_sel:WORD_1
	v_lshlrev_b16_e32 v26, 2, v17
	v_add_u16_e32 v21, v21, v24
	v_max_i16_sdwa v24, sext(v17), v13 dst_sel:DWORD dst_unused:UNUSED_PAD src0_sel:BYTE_0 src1_sel:DWORD
	v_and_b32_e32 v26, 12, v26
	v_add_u32_e32 v21, v21, v24
	v_max_i16_sdwa v24, sext(v18), v13 dst_sel:DWORD dst_unused:UNUSED_PAD src0_sel:BYTE_0 src1_sel:DWORD
	v_or_b32_e32 v22, v22, v26
	v_and_b32_e32 v26, 3, v18
	v_add3_u32 v20, v20, v21, s16
	v_sub_u32_e32 v21, 0, v24
	v_or_b32_e32 v22, v22, v26
	v_cmp_eq_u32_e32 vcc, v20, v21
	v_cndmask_b32_e32 v20, -1, v22, vcc
	v_addc_co_u32_e32 v8, vcc, 0, v8, vcc
	v_add_co_u32_e32 v11, vcc, 1, v11
	v_lshrrev_b32_sdwa v22, v14, v19 dst_sel:BYTE_1 dst_unused:UNUSED_PAD src0_sel:DWORD src1_sel:DWORD
	v_addc_co_u32_e32 v12, vcc, 0, v12, vcc
	global_store_short v[9:10], v20, off
	v_lshrrev_b32_sdwa v21, v14, v23 dst_sel:BYTE_1 dst_unused:UNUSED_PAD src0_sel:DWORD src1_sel:DWORD
	v_or_b32_sdwa v22, v19, v22 dst_sel:DWORD dst_unused:UNUSED_PAD src0_sel:BYTE_0 src1_sel:DWORD
	v_add_co_u32_e32 v9, vcc, 2, v9
	v_add_u32_e32 v7, 1, v7
	v_or_b32_sdwa v20, v23, v21 dst_sel:DWORD dst_unused:UNUSED_PAD src0_sel:BYTE_0 src1_sel:DWORD
	v_lshlrev_b32_e32 v23, 16, v22
	v_addc_co_u32_e32 v10, vcc, 0, v10, vcc
	v_or_b32_e32 v21, v21, v23
	v_cmp_ge_i32_e32 vcc, v7, v16
	v_lshrrev_b32_e32 v19, 24, v23
	v_lshrrev_b32_e32 v23, 8, v21
	s_or_b64 s[2:3], vcc, s[2:3]
	v_mov_b32_e32 v21, v15
	v_mov_b32_e32 v15, v17
	s_andn2_b64 exec, exec, s[2:3]
	s_cbranch_execz .LBB5_18
.LBB5_5:                                ; =>This Inner Loop Header: Depth=1
	v_mov_b32_e32 v17, v18
	global_load_ubyte v18, v[11:12], off
	s_waitcnt vmcnt(0)
	v_cmp_lt_i16_e32 vcc, 1, v18
	s_and_saveexec_b64 s[6:7], vcc
	s_xor_b64 s[6:7], exec, s[6:7]
	s_cbranch_execz .LBB5_13
; %bb.6:                                ;   in Loop: Header=BB5_5 Depth=1
	v_cmp_lt_i16_e32 vcc, 2, v18
	s_and_saveexec_b64 s[8:9], vcc
	s_xor_b64 s[8:9], exec, s[8:9]
	s_cbranch_execz .LBB5_10
; %bb.7:                                ;   in Loop: Header=BB5_5 Depth=1
	v_cmp_eq_u16_e32 vcc, 3, v18
	s_and_saveexec_b64 s[10:11], vcc
; %bb.8:                                ;   in Loop: Header=BB5_5 Depth=1
	v_add_u32_e32 v3, 1, v3
; %bb.9:                                ;   in Loop: Header=BB5_5 Depth=1
	s_or_b64 exec, exec, s[10:11]
.LBB5_10:                               ;   in Loop: Header=BB5_5 Depth=1
	s_andn2_saveexec_b64 s[8:9], s[8:9]
; %bb.11:                               ;   in Loop: Header=BB5_5 Depth=1
	v_add_u32_e32 v2, 1, v2
; %bb.12:                               ;   in Loop: Header=BB5_5 Depth=1
	s_or_b64 exec, exec, s[8:9]
.LBB5_13:                               ;   in Loop: Header=BB5_5 Depth=1
	s_andn2_saveexec_b64 s[6:7], s[6:7]
	s_cbranch_execz .LBB5_4
; %bb.14:                               ;   in Loop: Header=BB5_5 Depth=1
	v_cmp_lt_i16_e32 vcc, 0, v18
	s_and_saveexec_b64 s[8:9], vcc
	s_xor_b64 s[8:9], exec, s[8:9]
; %bb.15:                               ;   in Loop: Header=BB5_5 Depth=1
	v_add_u32_e32 v1, 1, v1
; %bb.16:                               ;   in Loop: Header=BB5_5 Depth=1
	s_andn2_saveexec_b64 s[8:9], s[8:9]
	s_cbranch_execz .LBB5_3
; %bb.17:                               ;   in Loop: Header=BB5_5 Depth=1
	v_add_u32_e32 v0, 1, v0
	s_branch .LBB5_3
.LBB5_18:
	s_or_b64 exec, exec, s[2:3]
	v_mov_b32_e32 v9, 0
.LBB5_19:
	s_or_b64 exec, exec, s[0:1]
	s_load_dwordx4 s[0:3], s[4:5], 0x28
	v_lshlrev_b32_e32 v4, 2, v4
	s_waitcnt lgkmcnt(0)
	v_mov_b32_e32 v7, s1
	v_add_co_u32_e32 v5, vcc, s0, v5
	v_addc_co_u32_e32 v6, vcc, v7, v6, vcc
	global_store_dwordx2 v[5:6], v[8:9], off
	v_ashrrev_i32_e32 v5, 31, v4
	v_lshlrev_b64 v[4:5], 2, v[4:5]
	v_mov_b32_e32 v6, s3
	v_add_co_u32_e32 v4, vcc, s2, v4
	v_addc_co_u32_e32 v5, vcc, v6, v5, vcc
	global_store_dwordx4 v[4:5], v[0:3], off
.LBB5_20:
	s_endpgm
	.section	.rodata,"a",@progbits
	.p2align	6, 0x0
	.amdhsa_kernel _Z19kernel_createIndex7PKcPKiPKlPtS5_PlPii
		.amdhsa_group_segment_fixed_size 0
		.amdhsa_private_segment_fixed_size 0
		.amdhsa_kernarg_size 320
		.amdhsa_user_sgpr_count 6
		.amdhsa_user_sgpr_private_segment_buffer 1
		.amdhsa_user_sgpr_dispatch_ptr 0
		.amdhsa_user_sgpr_queue_ptr 0
		.amdhsa_user_sgpr_kernarg_segment_ptr 1
		.amdhsa_user_sgpr_dispatch_id 0
		.amdhsa_user_sgpr_flat_scratch_init 0
		.amdhsa_user_sgpr_private_segment_size 0
		.amdhsa_uses_dynamic_stack 0
		.amdhsa_system_sgpr_private_segment_wavefront_offset 0
		.amdhsa_system_sgpr_workgroup_id_x 1
		.amdhsa_system_sgpr_workgroup_id_y 0
		.amdhsa_system_sgpr_workgroup_id_z 0
		.amdhsa_system_sgpr_workgroup_info 0
		.amdhsa_system_vgpr_workitem_id 0
		.amdhsa_next_free_vgpr 27
		.amdhsa_next_free_sgpr 17
		.amdhsa_reserve_vcc 1
		.amdhsa_reserve_flat_scratch 0
		.amdhsa_float_round_mode_32 0
		.amdhsa_float_round_mode_16_64 0
		.amdhsa_float_denorm_mode_32 3
		.amdhsa_float_denorm_mode_16_64 3
		.amdhsa_dx10_clamp 1
		.amdhsa_ieee_mode 1
		.amdhsa_fp16_overflow 0
		.amdhsa_exception_fp_ieee_invalid_op 0
		.amdhsa_exception_fp_denorm_src 0
		.amdhsa_exception_fp_ieee_div_zero 0
		.amdhsa_exception_fp_ieee_overflow 0
		.amdhsa_exception_fp_ieee_underflow 0
		.amdhsa_exception_fp_ieee_inexact 0
		.amdhsa_exception_int_div_zero 0
	.end_amdhsa_kernel
	.text
.Lfunc_end5:
	.size	_Z19kernel_createIndex7PKcPKiPKlPtS5_PlPii, .Lfunc_end5-_Z19kernel_createIndex7PKcPKiPKlPtS5_PlPii
                                        ; -- End function
	.set _Z19kernel_createIndex7PKcPKiPKlPtS5_PlPii.num_vgpr, 27
	.set _Z19kernel_createIndex7PKcPKiPKlPtS5_PlPii.num_agpr, 0
	.set _Z19kernel_createIndex7PKcPKiPKlPtS5_PlPii.numbered_sgpr, 17
	.set _Z19kernel_createIndex7PKcPKiPKlPtS5_PlPii.num_named_barrier, 0
	.set _Z19kernel_createIndex7PKcPKiPKlPtS5_PlPii.private_seg_size, 0
	.set _Z19kernel_createIndex7PKcPKiPKlPtS5_PlPii.uses_vcc, 1
	.set _Z19kernel_createIndex7PKcPKiPKlPtS5_PlPii.uses_flat_scratch, 0
	.set _Z19kernel_createIndex7PKcPKiPKlPtS5_PlPii.has_dyn_sized_stack, 0
	.set _Z19kernel_createIndex7PKcPKiPKlPtS5_PlPii.has_recursion, 0
	.set _Z19kernel_createIndex7PKcPKiPKlPtS5_PlPii.has_indirect_call, 0
	.section	.AMDGPU.csdata,"",@progbits
; Kernel info:
; codeLenInByte = 852
; TotalNumSgprs: 21
; NumVgprs: 27
; ScratchSize: 0
; MemoryBound: 0
; FloatMode: 240
; IeeeMode: 1
; LDSByteSize: 0 bytes/workgroup (compile time only)
; SGPRBlocks: 2
; VGPRBlocks: 6
; NumSGPRsForWavesPerEU: 21
; NumVGPRsForWavesPerEU: 27
; Occupancy: 9
; WaveLimiterHint : 0
; COMPUTE_PGM_RSRC2:SCRATCH_EN: 0
; COMPUTE_PGM_RSRC2:USER_SGPR: 6
; COMPUTE_PGM_RSRC2:TRAP_HANDLER: 0
; COMPUTE_PGM_RSRC2:TGID_X_EN: 1
; COMPUTE_PGM_RSRC2:TGID_Y_EN: 0
; COMPUTE_PGM_RSRC2:TGID_Z_EN: 0
; COMPUTE_PGM_RSRC2:TIDIG_COMP_CNT: 0
	.text
	.protected	_Z19kernel_createCutofffiPKiPlPii ; -- Begin function _Z19kernel_createCutofffiPKiPlPii
	.globl	_Z19kernel_createCutofffiPKiPlPii
	.p2align	8
	.type	_Z19kernel_createCutofffiPKiPlPii,@function
_Z19kernel_createCutofffiPKiPlPii:      ; @_Z19kernel_createCutofffiPKiPlPii
; %bb.0:
	s_load_dword s0, s[4:5], 0x34
	s_load_dword s1, s[4:5], 0x20
	s_waitcnt lgkmcnt(0)
	s_and_b32 s0, s0, 0xffff
	s_mul_i32 s6, s6, s0
	v_add_u32_e32 v0, s6, v0
	v_cmp_gt_i32_e32 vcc, s1, v0
	s_and_saveexec_b64 s[0:1], vcc
	s_cbranch_execz .LBB6_2
; %bb.1:
	s_load_dwordx4 s[0:3], s[4:5], 0x0
	s_load_dwordx2 s[6:7], s[4:5], 0x18
	v_ashrrev_i32_e32 v1, 31, v0
	v_lshlrev_b64 v[0:1], 2, v[0:1]
	s_waitcnt lgkmcnt(0)
	v_mov_b32_e32 v3, s3
	v_add_co_u32_e32 v2, vcc, s2, v0
	v_addc_co_u32_e32 v3, vcc, v3, v1, vcc
	global_load_dword v2, v[2:3], off
	v_cvt_f32_i32_e32 v4, s1
	v_sub_f32_e64 v5, 1.0, s0
	v_add_co_u32_e32 v0, vcc, s6, v0
	s_waitcnt vmcnt(0)
	v_cvt_f32_i32_e32 v3, v2
	v_mul_f32_e32 v3, v5, v3
	v_mul_f32_e32 v3, v3, v4
	v_ceil_f32_e32 v3, v3
	v_cvt_i32_f32_e32 v3, v3
	v_mov_b32_e32 v4, s7
	v_addc_co_u32_e32 v1, vcc, v4, v1, vcc
	v_add_u32_e32 v3, s1, v3
	v_sub_u32_e32 v2, v2, v3
	v_add_u32_e32 v2, 1, v2
	global_store_dword v[0:1], v2, off
.LBB6_2:
	s_endpgm
	.section	.rodata,"a",@progbits
	.p2align	6, 0x0
	.amdhsa_kernel _Z19kernel_createCutofffiPKiPlPii
		.amdhsa_group_segment_fixed_size 0
		.amdhsa_private_segment_fixed_size 0
		.amdhsa_kernarg_size 296
		.amdhsa_user_sgpr_count 6
		.amdhsa_user_sgpr_private_segment_buffer 1
		.amdhsa_user_sgpr_dispatch_ptr 0
		.amdhsa_user_sgpr_queue_ptr 0
		.amdhsa_user_sgpr_kernarg_segment_ptr 1
		.amdhsa_user_sgpr_dispatch_id 0
		.amdhsa_user_sgpr_flat_scratch_init 0
		.amdhsa_user_sgpr_private_segment_size 0
		.amdhsa_uses_dynamic_stack 0
		.amdhsa_system_sgpr_private_segment_wavefront_offset 0
		.amdhsa_system_sgpr_workgroup_id_x 1
		.amdhsa_system_sgpr_workgroup_id_y 0
		.amdhsa_system_sgpr_workgroup_id_z 0
		.amdhsa_system_sgpr_workgroup_info 0
		.amdhsa_system_vgpr_workitem_id 0
		.amdhsa_next_free_vgpr 6
		.amdhsa_next_free_sgpr 8
		.amdhsa_reserve_vcc 1
		.amdhsa_reserve_flat_scratch 0
		.amdhsa_float_round_mode_32 0
		.amdhsa_float_round_mode_16_64 0
		.amdhsa_float_denorm_mode_32 3
		.amdhsa_float_denorm_mode_16_64 3
		.amdhsa_dx10_clamp 1
		.amdhsa_ieee_mode 1
		.amdhsa_fp16_overflow 0
		.amdhsa_exception_fp_ieee_invalid_op 0
		.amdhsa_exception_fp_denorm_src 0
		.amdhsa_exception_fp_ieee_div_zero 0
		.amdhsa_exception_fp_ieee_overflow 0
		.amdhsa_exception_fp_ieee_underflow 0
		.amdhsa_exception_fp_ieee_inexact 0
		.amdhsa_exception_int_div_zero 0
	.end_amdhsa_kernel
	.text
.Lfunc_end6:
	.size	_Z19kernel_createCutofffiPKiPlPii, .Lfunc_end6-_Z19kernel_createCutofffiPKiPlPii
                                        ; -- End function
	.set _Z19kernel_createCutofffiPKiPlPii.num_vgpr, 6
	.set _Z19kernel_createCutofffiPKiPlPii.num_agpr, 0
	.set _Z19kernel_createCutofffiPKiPlPii.numbered_sgpr, 8
	.set _Z19kernel_createCutofffiPKiPlPii.num_named_barrier, 0
	.set _Z19kernel_createCutofffiPKiPlPii.private_seg_size, 0
	.set _Z19kernel_createCutofffiPKiPlPii.uses_vcc, 1
	.set _Z19kernel_createCutofffiPKiPlPii.uses_flat_scratch, 0
	.set _Z19kernel_createCutofffiPKiPlPii.has_dyn_sized_stack, 0
	.set _Z19kernel_createCutofffiPKiPlPii.has_recursion, 0
	.set _Z19kernel_createCutofffiPKiPlPii.has_indirect_call, 0
	.section	.AMDGPU.csdata,"",@progbits
; Kernel info:
; codeLenInByte = 172
; TotalNumSgprs: 12
; NumVgprs: 6
; ScratchSize: 0
; MemoryBound: 0
; FloatMode: 240
; IeeeMode: 1
; LDSByteSize: 0 bytes/workgroup (compile time only)
; SGPRBlocks: 1
; VGPRBlocks: 1
; NumSGPRsForWavesPerEU: 12
; NumVGPRsForWavesPerEU: 6
; Occupancy: 10
; WaveLimiterHint : 0
; COMPUTE_PGM_RSRC2:SCRATCH_EN: 0
; COMPUTE_PGM_RSRC2:USER_SGPR: 6
; COMPUTE_PGM_RSRC2:TRAP_HANDLER: 0
; COMPUTE_PGM_RSRC2:TGID_X_EN: 1
; COMPUTE_PGM_RSRC2:TGID_Y_EN: 0
; COMPUTE_PGM_RSRC2:TGID_Z_EN: 0
; COMPUTE_PGM_RSRC2:TIDIG_COMP_CNT: 0
	.text
	.protected	_Z17kernel_mergeIndexPKlPKtPtS0_i ; -- Begin function _Z17kernel_mergeIndexPKlPKtPtS0_i
	.globl	_Z17kernel_mergeIndexPKlPKtPtS0_i
	.p2align	8
	.type	_Z17kernel_mergeIndexPKlPKtPtS0_i,@function
_Z17kernel_mergeIndexPKlPKtPtS0_i:      ; @_Z17kernel_mergeIndexPKlPKtPtS0_i
; %bb.0:
	s_load_dword s0, s[4:5], 0x34
	s_load_dword s1, s[4:5], 0x20
	s_waitcnt lgkmcnt(0)
	s_and_b32 s0, s0, 0xffff
	s_mul_i32 s6, s6, s0
	v_add_u32_e32 v0, s6, v0
	v_cmp_gt_i32_e32 vcc, s1, v0
	s_and_saveexec_b64 s[0:1], vcc
	s_cbranch_execz .LBB7_6
; %bb.1:
	s_load_dwordx8 s[8:15], s[4:5], 0x0
	v_ashrrev_i32_e32 v1, 31, v0
	v_lshlrev_b64 v[2:3], 3, v[0:1]
	v_mov_b32_e32 v6, 1
	s_waitcnt lgkmcnt(0)
	v_mov_b32_e32 v1, s9
	v_add_co_u32_e32 v0, vcc, s8, v2
	v_addc_co_u32_e32 v1, vcc, v1, v3, vcc
	global_load_dwordx2 v[0:1], v[0:1], off
	v_mov_b32_e32 v4, s15
	s_waitcnt vmcnt(0)
	v_add_co_u32_e32 v1, vcc, s14, v2
	v_addc_co_u32_e32 v2, vcc, v4, v3, vcc
	global_load_dwordx2 v[1:2], v[1:2], off
	v_add_u32_e32 v5, 1, v0
	s_waitcnt vmcnt(0)
	v_add_co_u32_e32 v4, vcc, v1, v0
	v_cmp_lt_i32_e32 vcc, v5, v4
	s_and_saveexec_b64 s[0:1], vcc
	s_cbranch_execz .LBB7_5
; %bb.2:
	v_mov_b32_e32 v1, 0
	v_mov_b32_e32 v2, v0
	v_ashrrev_i64 v[1:2], 31, v[1:2]
	v_mov_b32_e32 v3, s11
	v_add_co_u32_e32 v1, vcc, s10, v1
	v_addc_co_u32_e32 v2, vcc, v3, v2, vcc
	global_load_ushort v7, v[1:2], off
	v_ashrrev_i32_e32 v1, 31, v0
	v_lshlrev_b64 v[2:3], 1, v[0:1]
	v_mov_b32_e32 v1, s13
	v_add_co_u32_e32 v0, vcc, s12, v2
	v_addc_co_u32_e32 v1, vcc, v1, v3, vcc
	v_mov_b32_e32 v8, s11
	v_add_co_u32_e32 v2, vcc, s10, v2
	v_addc_co_u32_e32 v3, vcc, v8, v3, vcc
	v_add_co_u32_e32 v2, vcc, 2, v2
	v_mov_b32_e32 v6, 1
	v_addc_co_u32_e32 v3, vcc, 0, v3, vcc
	s_mov_b64 s[2:3], 0
.LBB7_3:                                ; =>This Inner Loop Header: Depth=1
	global_load_ushort v8, v[2:3], off
	v_add_co_u32_e32 v2, vcc, 2, v2
	v_add_u32_e32 v5, 1, v5
	v_addc_co_u32_e32 v3, vcc, 0, v3, vcc
	v_cmp_ge_i32_e32 vcc, v5, v4
	s_or_b64 s[2:3], vcc, s[2:3]
	v_add_u32_e32 v9, 1, v6
	s_waitcnt vmcnt(0)
	v_cmp_eq_u16_e32 vcc, v8, v7
	v_cndmask_b32_e64 v10, v6, 0, vcc
	v_cndmask_b32_e32 v6, 1, v9, vcc
	global_store_short v[0:1], v10, off
	v_add_co_u32_e32 v0, vcc, 2, v0
	v_mov_b32_e32 v7, v8
	v_addc_co_u32_e32 v1, vcc, 0, v1, vcc
	s_andn2_b64 exec, exec, s[2:3]
	s_cbranch_execnz .LBB7_3
; %bb.4:
	s_or_b64 exec, exec, s[2:3]
.LBB7_5:
	s_or_b64 exec, exec, s[0:1]
	v_add_u32_e32 v1, -1, v4
	v_mov_b32_e32 v0, 0
	v_ashrrev_i64 v[0:1], 31, v[0:1]
	v_mov_b32_e32 v2, s13
	v_add_co_u32_e32 v0, vcc, s12, v0
	v_addc_co_u32_e32 v1, vcc, v2, v1, vcc
	global_store_short v[0:1], v6, off
.LBB7_6:
	s_endpgm
	.section	.rodata,"a",@progbits
	.p2align	6, 0x0
	.amdhsa_kernel _Z17kernel_mergeIndexPKlPKtPtS0_i
		.amdhsa_group_segment_fixed_size 0
		.amdhsa_private_segment_fixed_size 0
		.amdhsa_kernarg_size 296
		.amdhsa_user_sgpr_count 6
		.amdhsa_user_sgpr_private_segment_buffer 1
		.amdhsa_user_sgpr_dispatch_ptr 0
		.amdhsa_user_sgpr_queue_ptr 0
		.amdhsa_user_sgpr_kernarg_segment_ptr 1
		.amdhsa_user_sgpr_dispatch_id 0
		.amdhsa_user_sgpr_flat_scratch_init 0
		.amdhsa_user_sgpr_private_segment_size 0
		.amdhsa_uses_dynamic_stack 0
		.amdhsa_system_sgpr_private_segment_wavefront_offset 0
		.amdhsa_system_sgpr_workgroup_id_x 1
		.amdhsa_system_sgpr_workgroup_id_y 0
		.amdhsa_system_sgpr_workgroup_id_z 0
		.amdhsa_system_sgpr_workgroup_info 0
		.amdhsa_system_vgpr_workitem_id 0
		.amdhsa_next_free_vgpr 11
		.amdhsa_next_free_sgpr 16
		.amdhsa_reserve_vcc 1
		.amdhsa_reserve_flat_scratch 0
		.amdhsa_float_round_mode_32 0
		.amdhsa_float_round_mode_16_64 0
		.amdhsa_float_denorm_mode_32 3
		.amdhsa_float_denorm_mode_16_64 3
		.amdhsa_dx10_clamp 1
		.amdhsa_ieee_mode 1
		.amdhsa_fp16_overflow 0
		.amdhsa_exception_fp_ieee_invalid_op 0
		.amdhsa_exception_fp_denorm_src 0
		.amdhsa_exception_fp_ieee_div_zero 0
		.amdhsa_exception_fp_ieee_overflow 0
		.amdhsa_exception_fp_ieee_underflow 0
		.amdhsa_exception_fp_ieee_inexact 0
		.amdhsa_exception_int_div_zero 0
	.end_amdhsa_kernel
	.text
.Lfunc_end7:
	.size	_Z17kernel_mergeIndexPKlPKtPtS0_i, .Lfunc_end7-_Z17kernel_mergeIndexPKlPKtPtS0_i
                                        ; -- End function
	.set _Z17kernel_mergeIndexPKlPKtPtS0_i.num_vgpr, 11
	.set _Z17kernel_mergeIndexPKlPKtPtS0_i.num_agpr, 0
	.set _Z17kernel_mergeIndexPKlPKtPtS0_i.numbered_sgpr, 16
	.set _Z17kernel_mergeIndexPKlPKtPtS0_i.num_named_barrier, 0
	.set _Z17kernel_mergeIndexPKlPKtPtS0_i.private_seg_size, 0
	.set _Z17kernel_mergeIndexPKlPKtPtS0_i.uses_vcc, 1
	.set _Z17kernel_mergeIndexPKlPKtPtS0_i.uses_flat_scratch, 0
	.set _Z17kernel_mergeIndexPKlPKtPtS0_i.has_dyn_sized_stack, 0
	.set _Z17kernel_mergeIndexPKlPKtPtS0_i.has_recursion, 0
	.set _Z17kernel_mergeIndexPKlPKtPtS0_i.has_indirect_call, 0
	.section	.AMDGPU.csdata,"",@progbits
; Kernel info:
; codeLenInByte = 360
; TotalNumSgprs: 20
; NumVgprs: 11
; ScratchSize: 0
; MemoryBound: 0
; FloatMode: 240
; IeeeMode: 1
; LDSByteSize: 0 bytes/workgroup (compile time only)
; SGPRBlocks: 2
; VGPRBlocks: 2
; NumSGPRsForWavesPerEU: 20
; NumVGPRsForWavesPerEU: 11
; Occupancy: 10
; WaveLimiterHint : 1
; COMPUTE_PGM_RSRC2:SCRATCH_EN: 0
; COMPUTE_PGM_RSRC2:USER_SGPR: 6
; COMPUTE_PGM_RSRC2:TRAP_HANDLER: 0
; COMPUTE_PGM_RSRC2:TGID_X_EN: 1
; COMPUTE_PGM_RSRC2:TGID_Y_EN: 0
; COMPUTE_PGM_RSRC2:TGID_Z_EN: 0
; COMPUTE_PGM_RSRC2:TIDIG_COMP_CNT: 0
	.text
	.protected	_Z27kernel_updateRepresentativePiS_i ; -- Begin function _Z27kernel_updateRepresentativePiS_i
	.globl	_Z27kernel_updateRepresentativePiS_i
	.p2align	8
	.type	_Z27kernel_updateRepresentativePiS_i,@function
_Z27kernel_updateRepresentativePiS_i:   ; @_Z27kernel_updateRepresentativePiS_i
; %bb.0:
	s_load_dwordx4 s[0:3], s[4:5], 0x0
	s_load_dword s11, s[4:5], 0x10
	s_waitcnt lgkmcnt(0)
	s_load_dword s4, s[2:3], 0x0
	s_waitcnt lgkmcnt(0)
	s_ashr_i32 s5, s4, 31
	s_add_i32 s6, s4, 1
	s_max_i32 s10, s11, s6
	s_lshl_b64 s[6:7], s[4:5], 2
	s_add_u32 s0, s0, s6
	s_addc_u32 s1, s1, s7
	s_add_u32 s0, s0, 4
	s_addc_u32 s1, s1, 0
	s_branch .LBB8_2
.LBB8_1:                                ;   in Loop: Header=BB8_2 Depth=1
	s_andn2_b64 vcc, exec, s[8:9]
	s_cbranch_vccz .LBB8_4
.LBB8_2:                                ; =>This Inner Loop Header: Depth=1
	s_add_i32 s4, s4, 1
	s_mov_b64 s[6:7], -1
	s_cmp_ge_i32 s4, s11
	s_mov_b64 s[8:9], -1
	s_cbranch_scc1 .LBB8_1
; %bb.3:                                ;   in Loop: Header=BB8_2 Depth=1
	s_load_dword s5, s[0:1], 0x0
	s_mov_b64 s[6:7], 0
	s_waitcnt lgkmcnt(0)
	s_cmp_lt_i32 s5, 0
	s_cselect_b64 s[8:9], -1, 0
	s_add_u32 s0, s0, 4
	s_addc_u32 s1, s1, 0
	s_branch .LBB8_1
.LBB8_4:
	s_andn2_b64 vcc, exec, s[6:7]
	s_cbranch_vccz .LBB8_6
; %bb.5:
	v_mov_b32_e32 v0, 0
	v_mov_b32_e32 v1, s4
	s_mov_b32 s10, s4
	global_store_dword v0, v1, s[0:1] offset:-4
.LBB8_6:
	v_mov_b32_e32 v0, 0
	v_mov_b32_e32 v1, s10
	global_store_dword v0, v1, s[2:3]
	s_endpgm
	.section	.rodata,"a",@progbits
	.p2align	6, 0x0
	.amdhsa_kernel _Z27kernel_updateRepresentativePiS_i
		.amdhsa_group_segment_fixed_size 0
		.amdhsa_private_segment_fixed_size 0
		.amdhsa_kernarg_size 20
		.amdhsa_user_sgpr_count 6
		.amdhsa_user_sgpr_private_segment_buffer 1
		.amdhsa_user_sgpr_dispatch_ptr 0
		.amdhsa_user_sgpr_queue_ptr 0
		.amdhsa_user_sgpr_kernarg_segment_ptr 1
		.amdhsa_user_sgpr_dispatch_id 0
		.amdhsa_user_sgpr_flat_scratch_init 0
		.amdhsa_user_sgpr_private_segment_size 0
		.amdhsa_uses_dynamic_stack 0
		.amdhsa_system_sgpr_private_segment_wavefront_offset 0
		.amdhsa_system_sgpr_workgroup_id_x 1
		.amdhsa_system_sgpr_workgroup_id_y 0
		.amdhsa_system_sgpr_workgroup_id_z 0
		.amdhsa_system_sgpr_workgroup_info 0
		.amdhsa_system_vgpr_workitem_id 0
		.amdhsa_next_free_vgpr 2
		.amdhsa_next_free_sgpr 12
		.amdhsa_reserve_vcc 1
		.amdhsa_reserve_flat_scratch 0
		.amdhsa_float_round_mode_32 0
		.amdhsa_float_round_mode_16_64 0
		.amdhsa_float_denorm_mode_32 3
		.amdhsa_float_denorm_mode_16_64 3
		.amdhsa_dx10_clamp 1
		.amdhsa_ieee_mode 1
		.amdhsa_fp16_overflow 0
		.amdhsa_exception_fp_ieee_invalid_op 0
		.amdhsa_exception_fp_denorm_src 0
		.amdhsa_exception_fp_ieee_div_zero 0
		.amdhsa_exception_fp_ieee_overflow 0
		.amdhsa_exception_fp_ieee_underflow 0
		.amdhsa_exception_fp_ieee_inexact 0
		.amdhsa_exception_int_div_zero 0
	.end_amdhsa_kernel
	.text
.Lfunc_end8:
	.size	_Z27kernel_updateRepresentativePiS_i, .Lfunc_end8-_Z27kernel_updateRepresentativePiS_i
                                        ; -- End function
	.set _Z27kernel_updateRepresentativePiS_i.num_vgpr, 2
	.set _Z27kernel_updateRepresentativePiS_i.num_agpr, 0
	.set _Z27kernel_updateRepresentativePiS_i.numbered_sgpr, 12
	.set _Z27kernel_updateRepresentativePiS_i.num_named_barrier, 0
	.set _Z27kernel_updateRepresentativePiS_i.private_seg_size, 0
	.set _Z27kernel_updateRepresentativePiS_i.uses_vcc, 1
	.set _Z27kernel_updateRepresentativePiS_i.uses_flat_scratch, 0
	.set _Z27kernel_updateRepresentativePiS_i.has_dyn_sized_stack, 0
	.set _Z27kernel_updateRepresentativePiS_i.has_recursion, 0
	.set _Z27kernel_updateRepresentativePiS_i.has_indirect_call, 0
	.section	.AMDGPU.csdata,"",@progbits
; Kernel info:
; codeLenInByte = 180
; TotalNumSgprs: 16
; NumVgprs: 2
; ScratchSize: 0
; MemoryBound: 0
; FloatMode: 240
; IeeeMode: 1
; LDSByteSize: 0 bytes/workgroup (compile time only)
; SGPRBlocks: 1
; VGPRBlocks: 0
; NumSGPRsForWavesPerEU: 16
; NumVGPRsForWavesPerEU: 2
; Occupancy: 10
; WaveLimiterHint : 0
; COMPUTE_PGM_RSRC2:SCRATCH_EN: 0
; COMPUTE_PGM_RSRC2:USER_SGPR: 6
; COMPUTE_PGM_RSRC2:TRAP_HANDLER: 0
; COMPUTE_PGM_RSRC2:TGID_X_EN: 1
; COMPUTE_PGM_RSRC2:TGID_Y_EN: 0
; COMPUTE_PGM_RSRC2:TGID_Z_EN: 0
; COMPUTE_PGM_RSRC2:TIDIG_COMP_CNT: 0
	.text
	.protected	_Z16kernel_makeTablePKlPKtS2_S0_Pti ; -- Begin function _Z16kernel_makeTablePKlPKtS2_S0_Pti
	.globl	_Z16kernel_makeTablePKlPKtS2_S0_Pti
	.p2align	8
	.type	_Z16kernel_makeTablePKlPKtS2_S0_Pti,@function
_Z16kernel_makeTablePKlPKtS2_S0_Pti:    ; @_Z16kernel_makeTablePKlPKtS2_S0_Pti
; %bb.0:
	s_load_dword s0, s[4:5], 0x28
	s_load_dword s2, s[4:5], 0x3c
	s_load_dwordx8 s[8:15], s[4:5], 0x0
	s_waitcnt lgkmcnt(0)
	s_ashr_i32 s1, s0, 31
	s_and_b32 s7, s2, 0xffff
	s_lshl_b64 s[0:1], s[0:1], 3
	s_add_u32 s2, s8, s0
	s_addc_u32 s3, s9, s1
	s_add_u32 s0, s14, s0
	s_load_dword s2, s[2:3], 0x0
	s_addc_u32 s1, s15, s1
	s_load_dword s0, s[0:1], 0x0
	s_mul_i32 s6, s6, s7
	s_waitcnt lgkmcnt(0)
	s_add_i32 s1, s2, s6
	v_add_u32_e32 v0, s1, v0
	s_add_i32 s6, s0, s2
	v_cmp_gt_i32_e32 vcc, s6, v0
	s_and_saveexec_b64 s[0:1], vcc
	s_cbranch_execz .LBB9_5
; %bb.1:
	v_ashrrev_i32_e32 v1, 31, v0
	v_lshlrev_b64 v[3:4], 1, v[0:1]
	s_load_dwordx2 s[2:3], s[4:5], 0x20
	v_mov_b32_e32 v2, s13
	v_add_co_u32_e32 v1, vcc, s12, v3
	v_addc_co_u32_e32 v2, vcc, v2, v4, vcc
	v_mov_b32_e32 v5, s11
	v_add_co_u32_e32 v3, vcc, s10, v3
	v_addc_co_u32_e32 v4, vcc, v5, v4, vcc
	s_mov_b64 s[4:5], 0
	s_branch .LBB9_3
.LBB9_2:                                ;   in Loop: Header=BB9_3 Depth=1
	s_or_b64 exec, exec, s[0:1]
	v_add_co_u32_e32 v1, vcc, 0x8000, v1
	v_add_u32_e32 v0, 0x4000, v0
	v_addc_co_u32_e32 v2, vcc, 0, v2, vcc
	v_add_co_u32_e32 v3, vcc, 0x8000, v3
	v_cmp_le_i32_e64 s[0:1], s6, v0
	s_or_b64 s[4:5], s[0:1], s[4:5]
	v_addc_co_u32_e32 v4, vcc, 0, v4, vcc
	s_andn2_b64 exec, exec, s[4:5]
	s_cbranch_execz .LBB9_5
.LBB9_3:                                ; =>This Inner Loop Header: Depth=1
	global_load_ushort v5, v[1:2], off
	s_waitcnt vmcnt(0)
	v_cmp_ne_u16_e32 vcc, 0, v5
	s_and_saveexec_b64 s[0:1], vcc
	s_cbranch_execz .LBB9_2
; %bb.4:                                ;   in Loop: Header=BB9_3 Depth=1
	global_load_ushort v6, v[3:4], off
	s_waitcnt vmcnt(0)
	v_lshlrev_b32_e32 v6, 1, v6
	s_waitcnt lgkmcnt(0)
	global_store_short v6, v5, s[2:3]
	s_branch .LBB9_2
.LBB9_5:
	s_endpgm
	.section	.rodata,"a",@progbits
	.p2align	6, 0x0
	.amdhsa_kernel _Z16kernel_makeTablePKlPKtS2_S0_Pti
		.amdhsa_group_segment_fixed_size 0
		.amdhsa_private_segment_fixed_size 0
		.amdhsa_kernarg_size 304
		.amdhsa_user_sgpr_count 6
		.amdhsa_user_sgpr_private_segment_buffer 1
		.amdhsa_user_sgpr_dispatch_ptr 0
		.amdhsa_user_sgpr_queue_ptr 0
		.amdhsa_user_sgpr_kernarg_segment_ptr 1
		.amdhsa_user_sgpr_dispatch_id 0
		.amdhsa_user_sgpr_flat_scratch_init 0
		.amdhsa_user_sgpr_private_segment_size 0
		.amdhsa_uses_dynamic_stack 0
		.amdhsa_system_sgpr_private_segment_wavefront_offset 0
		.amdhsa_system_sgpr_workgroup_id_x 1
		.amdhsa_system_sgpr_workgroup_id_y 0
		.amdhsa_system_sgpr_workgroup_id_z 0
		.amdhsa_system_sgpr_workgroup_info 0
		.amdhsa_system_vgpr_workitem_id 0
		.amdhsa_next_free_vgpr 7
		.amdhsa_next_free_sgpr 16
		.amdhsa_reserve_vcc 1
		.amdhsa_reserve_flat_scratch 0
		.amdhsa_float_round_mode_32 0
		.amdhsa_float_round_mode_16_64 0
		.amdhsa_float_denorm_mode_32 3
		.amdhsa_float_denorm_mode_16_64 3
		.amdhsa_dx10_clamp 1
		.amdhsa_ieee_mode 1
		.amdhsa_fp16_overflow 0
		.amdhsa_exception_fp_ieee_invalid_op 0
		.amdhsa_exception_fp_denorm_src 0
		.amdhsa_exception_fp_ieee_div_zero 0
		.amdhsa_exception_fp_ieee_overflow 0
		.amdhsa_exception_fp_ieee_underflow 0
		.amdhsa_exception_fp_ieee_inexact 0
		.amdhsa_exception_int_div_zero 0
	.end_amdhsa_kernel
	.text
.Lfunc_end9:
	.size	_Z16kernel_makeTablePKlPKtS2_S0_Pti, .Lfunc_end9-_Z16kernel_makeTablePKlPKtS2_S0_Pti
                                        ; -- End function
	.set _Z16kernel_makeTablePKlPKtS2_S0_Pti.num_vgpr, 7
	.set _Z16kernel_makeTablePKlPKtS2_S0_Pti.num_agpr, 0
	.set _Z16kernel_makeTablePKlPKtS2_S0_Pti.numbered_sgpr, 16
	.set _Z16kernel_makeTablePKlPKtS2_S0_Pti.num_named_barrier, 0
	.set _Z16kernel_makeTablePKlPKtS2_S0_Pti.private_seg_size, 0
	.set _Z16kernel_makeTablePKlPKtS2_S0_Pti.uses_vcc, 1
	.set _Z16kernel_makeTablePKlPKtS2_S0_Pti.uses_flat_scratch, 0
	.set _Z16kernel_makeTablePKlPKtS2_S0_Pti.has_dyn_sized_stack, 0
	.set _Z16kernel_makeTablePKlPKtS2_S0_Pti.has_recursion, 0
	.set _Z16kernel_makeTablePKlPKtS2_S0_Pti.has_indirect_call, 0
	.section	.AMDGPU.csdata,"",@progbits
; Kernel info:
; codeLenInByte = 276
; TotalNumSgprs: 20
; NumVgprs: 7
; ScratchSize: 0
; MemoryBound: 0
; FloatMode: 240
; IeeeMode: 1
; LDSByteSize: 0 bytes/workgroup (compile time only)
; SGPRBlocks: 2
; VGPRBlocks: 1
; NumSGPRsForWavesPerEU: 20
; NumVGPRsForWavesPerEU: 7
; Occupancy: 10
; WaveLimiterHint : 1
; COMPUTE_PGM_RSRC2:SCRATCH_EN: 0
; COMPUTE_PGM_RSRC2:USER_SGPR: 6
; COMPUTE_PGM_RSRC2:TRAP_HANDLER: 0
; COMPUTE_PGM_RSRC2:TGID_X_EN: 1
; COMPUTE_PGM_RSRC2:TGID_Y_EN: 0
; COMPUTE_PGM_RSRC2:TGID_Z_EN: 0
; COMPUTE_PGM_RSRC2:TIDIG_COMP_CNT: 0
	.text
	.protected	_Z17kernel_cleanTablePKlPKtS2_S0_Pti ; -- Begin function _Z17kernel_cleanTablePKlPKtS2_S0_Pti
	.globl	_Z17kernel_cleanTablePKlPKtS2_S0_Pti
	.p2align	8
	.type	_Z17kernel_cleanTablePKlPKtS2_S0_Pti,@function
_Z17kernel_cleanTablePKlPKtS2_S0_Pti:   ; @_Z17kernel_cleanTablePKlPKtS2_S0_Pti
; %bb.0:
	s_load_dword s0, s[4:5], 0x28
	s_load_dword s2, s[4:5], 0x3c
	s_load_dwordx8 s[8:15], s[4:5], 0x0
	s_waitcnt lgkmcnt(0)
	s_ashr_i32 s1, s0, 31
	s_and_b32 s7, s2, 0xffff
	s_lshl_b64 s[0:1], s[0:1], 3
	s_add_u32 s2, s8, s0
	s_addc_u32 s3, s9, s1
	s_add_u32 s0, s14, s0
	s_load_dword s2, s[2:3], 0x0
	s_addc_u32 s1, s15, s1
	s_load_dword s0, s[0:1], 0x0
	s_mul_i32 s6, s6, s7
	s_waitcnt lgkmcnt(0)
	s_add_i32 s1, s2, s6
	v_add_u32_e32 v0, s1, v0
	s_add_i32 s6, s0, s2
	v_cmp_gt_i32_e32 vcc, s6, v0
	s_and_saveexec_b64 s[0:1], vcc
	s_cbranch_execz .LBB10_5
; %bb.1:
	v_ashrrev_i32_e32 v1, 31, v0
	v_lshlrev_b64 v[3:4], 1, v[0:1]
	s_load_dwordx2 s[2:3], s[4:5], 0x20
	v_mov_b32_e32 v2, s13
	v_add_co_u32_e32 v1, vcc, s12, v3
	v_addc_co_u32_e32 v2, vcc, v2, v4, vcc
	v_mov_b32_e32 v5, s11
	v_add_co_u32_e32 v3, vcc, s10, v3
	v_addc_co_u32_e32 v4, vcc, v5, v4, vcc
	s_mov_b64 s[4:5], 0
	v_mov_b32_e32 v5, 0
	s_branch .LBB10_3
.LBB10_2:                               ;   in Loop: Header=BB10_3 Depth=1
	s_or_b64 exec, exec, s[0:1]
	v_add_co_u32_e32 v1, vcc, 0x8000, v1
	v_add_u32_e32 v0, 0x4000, v0
	v_addc_co_u32_e32 v2, vcc, 0, v2, vcc
	v_add_co_u32_e32 v3, vcc, 0x8000, v3
	v_cmp_le_i32_e64 s[0:1], s6, v0
	s_or_b64 s[4:5], s[0:1], s[4:5]
	v_addc_co_u32_e32 v4, vcc, 0, v4, vcc
	s_andn2_b64 exec, exec, s[4:5]
	s_cbranch_execz .LBB10_5
.LBB10_3:                               ; =>This Inner Loop Header: Depth=1
	global_load_ushort v6, v[1:2], off
	s_waitcnt vmcnt(0)
	v_cmp_ne_u16_e32 vcc, 0, v6
	s_and_saveexec_b64 s[0:1], vcc
	s_cbranch_execz .LBB10_2
; %bb.4:                                ;   in Loop: Header=BB10_3 Depth=1
	global_load_ushort v6, v[3:4], off
	s_waitcnt vmcnt(0)
	v_lshlrev_b32_e32 v6, 1, v6
	s_waitcnt lgkmcnt(0)
	global_store_short v6, v5, s[2:3]
	s_branch .LBB10_2
.LBB10_5:
	s_endpgm
	.section	.rodata,"a",@progbits
	.p2align	6, 0x0
	.amdhsa_kernel _Z17kernel_cleanTablePKlPKtS2_S0_Pti
		.amdhsa_group_segment_fixed_size 0
		.amdhsa_private_segment_fixed_size 0
		.amdhsa_kernarg_size 304
		.amdhsa_user_sgpr_count 6
		.amdhsa_user_sgpr_private_segment_buffer 1
		.amdhsa_user_sgpr_dispatch_ptr 0
		.amdhsa_user_sgpr_queue_ptr 0
		.amdhsa_user_sgpr_kernarg_segment_ptr 1
		.amdhsa_user_sgpr_dispatch_id 0
		.amdhsa_user_sgpr_flat_scratch_init 0
		.amdhsa_user_sgpr_private_segment_size 0
		.amdhsa_uses_dynamic_stack 0
		.amdhsa_system_sgpr_private_segment_wavefront_offset 0
		.amdhsa_system_sgpr_workgroup_id_x 1
		.amdhsa_system_sgpr_workgroup_id_y 0
		.amdhsa_system_sgpr_workgroup_id_z 0
		.amdhsa_system_sgpr_workgroup_info 0
		.amdhsa_system_vgpr_workitem_id 0
		.amdhsa_next_free_vgpr 7
		.amdhsa_next_free_sgpr 16
		.amdhsa_reserve_vcc 1
		.amdhsa_reserve_flat_scratch 0
		.amdhsa_float_round_mode_32 0
		.amdhsa_float_round_mode_16_64 0
		.amdhsa_float_denorm_mode_32 3
		.amdhsa_float_denorm_mode_16_64 3
		.amdhsa_dx10_clamp 1
		.amdhsa_ieee_mode 1
		.amdhsa_fp16_overflow 0
		.amdhsa_exception_fp_ieee_invalid_op 0
		.amdhsa_exception_fp_denorm_src 0
		.amdhsa_exception_fp_ieee_div_zero 0
		.amdhsa_exception_fp_ieee_overflow 0
		.amdhsa_exception_fp_ieee_underflow 0
		.amdhsa_exception_fp_ieee_inexact 0
		.amdhsa_exception_int_div_zero 0
	.end_amdhsa_kernel
	.text
.Lfunc_end10:
	.size	_Z17kernel_cleanTablePKlPKtS2_S0_Pti, .Lfunc_end10-_Z17kernel_cleanTablePKlPKtS2_S0_Pti
                                        ; -- End function
	.set _Z17kernel_cleanTablePKlPKtS2_S0_Pti.num_vgpr, 7
	.set _Z17kernel_cleanTablePKlPKtS2_S0_Pti.num_agpr, 0
	.set _Z17kernel_cleanTablePKlPKtS2_S0_Pti.numbered_sgpr, 16
	.set _Z17kernel_cleanTablePKlPKtS2_S0_Pti.num_named_barrier, 0
	.set _Z17kernel_cleanTablePKlPKtS2_S0_Pti.private_seg_size, 0
	.set _Z17kernel_cleanTablePKlPKtS2_S0_Pti.uses_vcc, 1
	.set _Z17kernel_cleanTablePKlPKtS2_S0_Pti.uses_flat_scratch, 0
	.set _Z17kernel_cleanTablePKlPKtS2_S0_Pti.has_dyn_sized_stack, 0
	.set _Z17kernel_cleanTablePKlPKtS2_S0_Pti.has_recursion, 0
	.set _Z17kernel_cleanTablePKlPKtS2_S0_Pti.has_indirect_call, 0
	.section	.AMDGPU.csdata,"",@progbits
; Kernel info:
; codeLenInByte = 280
; TotalNumSgprs: 20
; NumVgprs: 7
; ScratchSize: 0
; MemoryBound: 0
; FloatMode: 240
; IeeeMode: 1
; LDSByteSize: 0 bytes/workgroup (compile time only)
; SGPRBlocks: 2
; VGPRBlocks: 1
; NumSGPRsForWavesPerEU: 20
; NumVGPRsForWavesPerEU: 7
; Occupancy: 10
; WaveLimiterHint : 1
; COMPUTE_PGM_RSRC2:SCRATCH_EN: 0
; COMPUTE_PGM_RSRC2:USER_SGPR: 6
; COMPUTE_PGM_RSRC2:TRAP_HANDLER: 0
; COMPUTE_PGM_RSRC2:TGID_X_EN: 1
; COMPUTE_PGM_RSRC2:TGID_Y_EN: 0
; COMPUTE_PGM_RSRC2:TGID_Z_EN: 0
; COMPUTE_PGM_RSRC2:TIDIG_COMP_CNT: 0
	.text
	.protected	_Z12kernel_magicfPKiS0_Piii ; -- Begin function _Z12kernel_magicfPKiS0_Piii
	.globl	_Z12kernel_magicfPKiS0_Piii
	.p2align	8
	.type	_Z12kernel_magicfPKiS0_Piii,@function
_Z12kernel_magicfPKiS0_Piii:            ; @_Z12kernel_magicfPKiS0_Piii
; %bb.0:
	s_load_dword s2, s[4:5], 0x34
	s_load_dwordx2 s[0:1], s[4:5], 0x20
	s_waitcnt lgkmcnt(0)
	s_and_b32 s2, s2, 0xffff
	s_mul_i32 s6, s6, s2
	v_add_u32_e32 v4, s6, v0
	v_cmp_gt_i32_e32 vcc, s1, v4
	s_and_saveexec_b64 s[2:3], vcc
	s_cbranch_execz .LBB11_4
; %bb.1:
	s_load_dwordx2 s[2:3], s[4:5], 0x18
	v_ashrrev_i32_e32 v5, 31, v4
	v_lshlrev_b64 v[2:3], 2, v[4:5]
	s_waitcnt lgkmcnt(0)
	v_mov_b32_e32 v1, s3
	v_add_co_u32_e32 v0, vcc, s2, v2
	v_addc_co_u32_e32 v1, vcc, v1, v3, vcc
	global_load_dword v5, v[0:1], off
	s_waitcnt vmcnt(0)
	v_cmp_gt_i32_e32 vcc, 0, v5
	s_and_b64 exec, exec, vcc
	s_cbranch_execz .LBB11_4
; %bb.2:
	s_load_dwordx4 s[8:11], s[4:5], 0x8
	s_load_dword s6, s[4:5], 0x0
	v_lshlrev_b32_e32 v4, 2, v4
	v_ashrrev_i32_e32 v5, 31, v4
	v_lshlrev_b64 v[4:5], 2, v[4:5]
	s_waitcnt lgkmcnt(0)
	v_mov_b32_e32 v7, s11
	v_add_co_u32_e32 v6, vcc, s10, v4
	v_addc_co_u32_e32 v7, vcc, v7, v5, vcc
	v_mov_b32_e32 v4, s9
	v_add_co_u32_e32 v8, vcc, s8, v2
	v_addc_co_u32_e32 v9, vcc, v4, v3, vcc
	global_load_dword v10, v[8:9], off
	global_load_dwordx4 v[2:5], v[6:7], off
	s_lshl_b32 s0, s0, 2
	s_ashr_i32 s1, s0, 31
	s_lshl_b64 s[0:1], s[0:1], 2
	s_add_u32 s4, s10, s0
	s_addc_u32 s5, s11, s1
	s_load_dwordx4 s[0:3], s[4:5], 0x0
	s_waitcnt vmcnt(1)
	v_cvt_f32_i32_e32 v6, v10
	s_waitcnt vmcnt(0) lgkmcnt(0)
	v_min_i32_e32 v2, s0, v2
	v_min_i32_e32 v3, s1, v3
	v_add_u32_e32 v2, v3, v2
	v_mul_f32_e32 v3, s6, v6
	v_ceil_f32_e32 v3, v3
	v_cvt_i32_f32_e32 v3, v3
	v_min_i32_e32 v4, s2, v4
	v_min_i32_e32 v5, s3, v5
	v_add3_u32 v2, v2, v4, v5
	v_cmp_gt_i32_e32 vcc, v2, v3
	s_and_b64 exec, exec, vcc
	s_cbranch_execz .LBB11_4
; %bb.3:
	v_mov_b32_e32 v2, -2
	global_store_dword v[0:1], v2, off
.LBB11_4:
	s_endpgm
	.section	.rodata,"a",@progbits
	.p2align	6, 0x0
	.amdhsa_kernel _Z12kernel_magicfPKiS0_Piii
		.amdhsa_group_segment_fixed_size 0
		.amdhsa_private_segment_fixed_size 0
		.amdhsa_kernarg_size 296
		.amdhsa_user_sgpr_count 6
		.amdhsa_user_sgpr_private_segment_buffer 1
		.amdhsa_user_sgpr_dispatch_ptr 0
		.amdhsa_user_sgpr_queue_ptr 0
		.amdhsa_user_sgpr_kernarg_segment_ptr 1
		.amdhsa_user_sgpr_dispatch_id 0
		.amdhsa_user_sgpr_flat_scratch_init 0
		.amdhsa_user_sgpr_private_segment_size 0
		.amdhsa_uses_dynamic_stack 0
		.amdhsa_system_sgpr_private_segment_wavefront_offset 0
		.amdhsa_system_sgpr_workgroup_id_x 1
		.amdhsa_system_sgpr_workgroup_id_y 0
		.amdhsa_system_sgpr_workgroup_id_z 0
		.amdhsa_system_sgpr_workgroup_info 0
		.amdhsa_system_vgpr_workitem_id 0
		.amdhsa_next_free_vgpr 11
		.amdhsa_next_free_sgpr 12
		.amdhsa_reserve_vcc 1
		.amdhsa_reserve_flat_scratch 0
		.amdhsa_float_round_mode_32 0
		.amdhsa_float_round_mode_16_64 0
		.amdhsa_float_denorm_mode_32 3
		.amdhsa_float_denorm_mode_16_64 3
		.amdhsa_dx10_clamp 1
		.amdhsa_ieee_mode 1
		.amdhsa_fp16_overflow 0
		.amdhsa_exception_fp_ieee_invalid_op 0
		.amdhsa_exception_fp_denorm_src 0
		.amdhsa_exception_fp_ieee_div_zero 0
		.amdhsa_exception_fp_ieee_overflow 0
		.amdhsa_exception_fp_ieee_underflow 0
		.amdhsa_exception_fp_ieee_inexact 0
		.amdhsa_exception_int_div_zero 0
	.end_amdhsa_kernel
	.text
.Lfunc_end11:
	.size	_Z12kernel_magicfPKiS0_Piii, .Lfunc_end11-_Z12kernel_magicfPKiS0_Piii
                                        ; -- End function
	.set _Z12kernel_magicfPKiS0_Piii.num_vgpr, 11
	.set _Z12kernel_magicfPKiS0_Piii.num_agpr, 0
	.set _Z12kernel_magicfPKiS0_Piii.numbered_sgpr, 12
	.set _Z12kernel_magicfPKiS0_Piii.num_named_barrier, 0
	.set _Z12kernel_magicfPKiS0_Piii.private_seg_size, 0
	.set _Z12kernel_magicfPKiS0_Piii.uses_vcc, 1
	.set _Z12kernel_magicfPKiS0_Piii.uses_flat_scratch, 0
	.set _Z12kernel_magicfPKiS0_Piii.has_dyn_sized_stack, 0
	.set _Z12kernel_magicfPKiS0_Piii.has_recursion, 0
	.set _Z12kernel_magicfPKiS0_Piii.has_indirect_call, 0
	.section	.AMDGPU.csdata,"",@progbits
; Kernel info:
; codeLenInByte = 292
; TotalNumSgprs: 16
; NumVgprs: 11
; ScratchSize: 0
; MemoryBound: 0
; FloatMode: 240
; IeeeMode: 1
; LDSByteSize: 0 bytes/workgroup (compile time only)
; SGPRBlocks: 1
; VGPRBlocks: 2
; NumSGPRsForWavesPerEU: 16
; NumVGPRsForWavesPerEU: 11
; Occupancy: 10
; WaveLimiterHint : 0
; COMPUTE_PGM_RSRC2:SCRATCH_EN: 0
; COMPUTE_PGM_RSRC2:USER_SGPR: 6
; COMPUTE_PGM_RSRC2:TRAP_HANDLER: 0
; COMPUTE_PGM_RSRC2:TGID_X_EN: 1
; COMPUTE_PGM_RSRC2:TGID_Y_EN: 0
; COMPUTE_PGM_RSRC2:TGID_Z_EN: 0
; COMPUTE_PGM_RSRC2:TIDIG_COMP_CNT: 0
	.text
	.protected	_Z13kernel_filterfiPKiPKlPKtS4_S2_S0_PiS4_i ; -- Begin function _Z13kernel_filterfiPKiPKlPKtS4_S2_S0_PiS4_i
	.globl	_Z13kernel_filterfiPKiPKlPKtS4_S2_S0_PiS4_i
	.p2align	8
	.type	_Z13kernel_filterfiPKiPKlPKtS4_S2_S0_PiS4_i,@function
_Z13kernel_filterfiPKiPKlPKtS4_S2_S0_PiS4_i: ; @_Z13kernel_filterfiPKiPKlPKtS4_S2_S0_PiS4_i
; %bb.0:
	s_load_dword s0, s[4:5], 0x48
	s_waitcnt lgkmcnt(0)
	s_cmp_ge_i32 s6, s0
	s_cbranch_scc1 .LBB12_8
; %bb.1:
	s_load_dwordx4 s[16:19], s[4:5], 0x30
	s_ashr_i32 s7, s6, 31
	s_lshl_b64 s[24:25], s[6:7], 2
	s_waitcnt lgkmcnt(0)
	s_add_u32 s2, s18, s24
	s_addc_u32 s3, s19, s25
	s_load_dword s0, s[2:3], 0x0
	s_waitcnt lgkmcnt(0)
	s_cmp_lg_u32 s0, -2
	s_cbranch_scc1 .LBB12_8
; %bb.2:
	s_load_dwordx8 s[8:15], s[4:5], 0x10
	s_lshl_b64 s[6:7], s[6:7], 3
	v_lshlrev_b32_e32 v5, 2, v0
	v_mov_b32_e32 v6, 0
	s_waitcnt lgkmcnt(0)
	s_add_u32 s0, s8, s6
	s_addc_u32 s1, s9, s7
	s_add_u32 s6, s14, s6
	s_load_dword s0, s[0:1], 0x0
	s_addc_u32 s7, s15, s7
	s_load_dword s8, s[6:7], 0x0
	s_load_dwordx4 s[20:23], s[4:5], 0x40
	ds_write_b32 v5, v6
	s_waitcnt lgkmcnt(0)
	v_add_u32_e32 v7, s0, v0
	s_add_i32 s8, s8, s0
	v_cmp_gt_i32_e32 vcc, s8, v7
	s_and_saveexec_b64 s[4:5], vcc
	s_cbranch_execz .LBB12_6
; %bb.3:
	s_ashr_i32 s1, s0, 31
	v_mov_b32_e32 v2, s1
	v_add_co_u32_e32 v1, vcc, s0, v0
	v_addc_co_u32_e32 v2, vcc, 0, v2, vcc
	v_lshlrev_b64 v[3:4], 1, v[1:2]
	v_mov_b32_e32 v2, s11
	v_add_co_u32_e32 v1, vcc, s10, v3
	v_addc_co_u32_e32 v2, vcc, v2, v4, vcc
	v_mov_b32_e32 v8, s13
	v_add_co_u32_e32 v3, vcc, s12, v3
	v_addc_co_u32_e32 v4, vcc, v8, v4, vcc
	s_mov_b64 s[6:7], 0
.LBB12_4:                               ; =>This Inner Loop Header: Depth=1
	global_load_ushort v8, v[1:2], off
	global_load_ushort v9, v[3:4], off
	v_add_co_u32_e32 v1, vcc, 0x100, v1
	v_add_u32_e32 v7, 0x80, v7
	v_addc_co_u32_e32 v2, vcc, 0, v2, vcc
	v_add_co_u32_e32 v3, vcc, 0x100, v3
	v_cmp_le_i32_e64 s[0:1], s8, v7
	v_addc_co_u32_e32 v4, vcc, 0, v4, vcc
	s_or_b64 s[6:7], s[0:1], s[6:7]
	s_waitcnt vmcnt(1)
	v_lshlrev_b32_e32 v8, 1, v8
	global_load_ushort v8, v8, s[20:21]
	s_waitcnt vmcnt(0)
	v_min_u16_e32 v8, v8, v9
	v_add_u32_e32 v6, v6, v8
	s_andn2_b64 exec, exec, s[6:7]
	s_cbranch_execnz .LBB12_4
; %bb.5:
	s_or_b64 exec, exec, s[6:7]
	ds_write_b32 v5, v6
.LBB12_6:
	s_or_b64 exec, exec, s[4:5]
	v_cmp_eq_u32_e32 vcc, 0, v0
	s_waitcnt lgkmcnt(0)
	s_barrier
	s_and_saveexec_b64 s[0:1], vcc
	s_cbranch_execz .LBB12_8
; %bb.7:
	v_mov_b32_e32 v0, 0
	ds_read_b128 v[1:4], v0
	ds_read_b128 v[5:8], v0 offset:16
	ds_read_b128 v[9:12], v0 offset:32
	;; [unrolled: 1-line block ×3, first 2 shown]
	s_add_u32 s0, s16, s24
	s_waitcnt lgkmcnt(3)
	v_add_u32_e32 v1, v1, v2
	v_add_u32_e32 v1, v1, v3
	;; [unrolled: 1-line block ×3, first 2 shown]
	s_waitcnt lgkmcnt(2)
	v_add_u32_e32 v5, v17, v5
	v_add_u32_e32 v5, v5, v6
	;; [unrolled: 1-line block ×4, first 2 shown]
	s_waitcnt lgkmcnt(1)
	v_add_u32_e32 v5, v5, v9
	v_add_u32_e32 v5, v5, v10
	;; [unrolled: 1-line block ×3, first 2 shown]
	ds_read_b128 v[1:4], v0 offset:64
	v_add_u32_e32 v5, v5, v12
	s_waitcnt lgkmcnt(1)
	v_add_u32_e32 v5, v5, v13
	v_add_u32_e32 v5, v5, v14
	;; [unrolled: 1-line block ×4, first 2 shown]
	ds_read_b128 v[5:8], v0 offset:80
	s_waitcnt lgkmcnt(1)
	v_add_u32_e32 v1, v9, v1
	v_add_u32_e32 v1, v1, v2
	v_add_u32_e32 v1, v1, v3
	v_add_u32_e32 v1, v1, v4
	s_waitcnt lgkmcnt(0)
	v_add_u32_e32 v5, v1, v5
	ds_read_b128 v[1:4], v0 offset:96
	v_add_u32_e32 v5, v5, v6
	v_add_u32_e32 v5, v5, v7
	v_add_u32_e32 v9, v5, v8
	ds_read_b128 v[5:8], v0 offset:112
	s_waitcnt lgkmcnt(1)
	v_add_u32_e32 v1, v9, v1
	v_add_u32_e32 v1, v1, v2
	v_add_u32_e32 v1, v1, v3
	v_add_u32_e32 v1, v1, v4
	s_waitcnt lgkmcnt(0)
	v_add_u32_e32 v5, v1, v5
	ds_read_b128 v[1:4], v0 offset:128
	v_add_u32_e32 v5, v5, v6
	v_add_u32_e32 v5, v5, v7
	v_add_u32_e32 v9, v5, v8
	;; [unrolled: 12-line block ×13, first 2 shown]
	ds_read_b128 v[5:8], v0 offset:496
	s_waitcnt lgkmcnt(1)
	v_add_u32_e32 v1, v9, v1
	v_add_u32_e32 v1, v1, v2
	;; [unrolled: 1-line block ×3, first 2 shown]
	s_addc_u32 s1, s17, s25
	v_add_u32_e32 v1, v1, v4
	s_load_dword s0, s[0:1], 0x0
	s_waitcnt lgkmcnt(0)
	v_add_u32_e32 v1, v1, v5
	v_add_u32_e32 v1, v1, v6
	;; [unrolled: 1-line block ×4, first 2 shown]
	v_cmp_lt_i32_e32 vcc, s0, v1
	ds_write_b32 v0, v1
	v_cndmask_b32_e64 v1, -1, -3, vcc
	s_waitcnt lgkmcnt(0)
	global_store_dword v0, v1, s[2:3]
.LBB12_8:
	s_endpgm
	.section	.rodata,"a",@progbits
	.p2align	6, 0x0
	.amdhsa_kernel _Z13kernel_filterfiPKiPKlPKtS4_S2_S0_PiS4_i
		.amdhsa_group_segment_fixed_size 512
		.amdhsa_private_segment_fixed_size 0
		.amdhsa_kernarg_size 76
		.amdhsa_user_sgpr_count 6
		.amdhsa_user_sgpr_private_segment_buffer 1
		.amdhsa_user_sgpr_dispatch_ptr 0
		.amdhsa_user_sgpr_queue_ptr 0
		.amdhsa_user_sgpr_kernarg_segment_ptr 1
		.amdhsa_user_sgpr_dispatch_id 0
		.amdhsa_user_sgpr_flat_scratch_init 0
		.amdhsa_user_sgpr_private_segment_size 0
		.amdhsa_uses_dynamic_stack 0
		.amdhsa_system_sgpr_private_segment_wavefront_offset 0
		.amdhsa_system_sgpr_workgroup_id_x 1
		.amdhsa_system_sgpr_workgroup_id_y 0
		.amdhsa_system_sgpr_workgroup_id_z 0
		.amdhsa_system_sgpr_workgroup_info 0
		.amdhsa_system_vgpr_workitem_id 0
		.amdhsa_next_free_vgpr 18
		.amdhsa_next_free_sgpr 26
		.amdhsa_reserve_vcc 1
		.amdhsa_reserve_flat_scratch 0
		.amdhsa_float_round_mode_32 0
		.amdhsa_float_round_mode_16_64 0
		.amdhsa_float_denorm_mode_32 3
		.amdhsa_float_denorm_mode_16_64 3
		.amdhsa_dx10_clamp 1
		.amdhsa_ieee_mode 1
		.amdhsa_fp16_overflow 0
		.amdhsa_exception_fp_ieee_invalid_op 0
		.amdhsa_exception_fp_denorm_src 0
		.amdhsa_exception_fp_ieee_div_zero 0
		.amdhsa_exception_fp_ieee_overflow 0
		.amdhsa_exception_fp_ieee_underflow 0
		.amdhsa_exception_fp_ieee_inexact 0
		.amdhsa_exception_int_div_zero 0
	.end_amdhsa_kernel
	.text
.Lfunc_end12:
	.size	_Z13kernel_filterfiPKiPKlPKtS4_S2_S0_PiS4_i, .Lfunc_end12-_Z13kernel_filterfiPKiPKlPKtS4_S2_S0_PiS4_i
                                        ; -- End function
	.set _Z13kernel_filterfiPKiPKlPKtS4_S2_S0_PiS4_i.num_vgpr, 18
	.set _Z13kernel_filterfiPKiPKlPKtS4_S2_S0_PiS4_i.num_agpr, 0
	.set _Z13kernel_filterfiPKiPKlPKtS4_S2_S0_PiS4_i.numbered_sgpr, 26
	.set _Z13kernel_filterfiPKiPKlPKtS4_S2_S0_PiS4_i.num_named_barrier, 0
	.set _Z13kernel_filterfiPKiPKlPKtS4_S2_S0_PiS4_i.private_seg_size, 0
	.set _Z13kernel_filterfiPKiPKlPKtS4_S2_S0_PiS4_i.uses_vcc, 1
	.set _Z13kernel_filterfiPKiPKlPKtS4_S2_S0_PiS4_i.uses_flat_scratch, 0
	.set _Z13kernel_filterfiPKiPKlPKtS4_S2_S0_PiS4_i.has_dyn_sized_stack, 0
	.set _Z13kernel_filterfiPKiPKlPKtS4_S2_S0_PiS4_i.has_recursion, 0
	.set _Z13kernel_filterfiPKiPKlPKtS4_S2_S0_PiS4_i.has_indirect_call, 0
	.section	.AMDGPU.csdata,"",@progbits
; Kernel info:
; codeLenInByte = 1296
; TotalNumSgprs: 30
; NumVgprs: 18
; ScratchSize: 0
; MemoryBound: 0
; FloatMode: 240
; IeeeMode: 1
; LDSByteSize: 512 bytes/workgroup (compile time only)
; SGPRBlocks: 3
; VGPRBlocks: 4
; NumSGPRsForWavesPerEU: 30
; NumVGPRsForWavesPerEU: 18
; Occupancy: 10
; WaveLimiterHint : 1
; COMPUTE_PGM_RSRC2:SCRATCH_EN: 0
; COMPUTE_PGM_RSRC2:USER_SGPR: 6
; COMPUTE_PGM_RSRC2:TRAP_HANDLER: 0
; COMPUTE_PGM_RSRC2:TGID_X_EN: 1
; COMPUTE_PGM_RSRC2:TGID_Y_EN: 0
; COMPUTE_PGM_RSRC2:TGID_Z_EN: 0
; COMPUTE_PGM_RSRC2:TIDIG_COMP_CNT: 0
	.text
	.protected	_Z12kernel_alignfPKiPKlPKjS0_iPii ; -- Begin function _Z12kernel_alignfPKiPKlPKjS0_iPii
	.globl	_Z12kernel_alignfPKiPKlPKjS0_iPii
	.p2align	8
	.type	_Z12kernel_alignfPKiPKlPKjS0_iPii,@function
_Z12kernel_alignfPKiPKlPKjS0_iPii:      ; @_Z12kernel_alignfPKiPKlPKjS0_iPii
; %bb.0:
	s_add_u32 s0, s0, s7
	s_load_dword s7, s[4:5], 0x4c
	s_load_dword s8, s[4:5], 0x38
	s_addc_u32 s1, s1, 0
	s_waitcnt lgkmcnt(0)
	s_and_b32 s7, s7, 0xffff
	s_mul_i32 s6, s6, s7
	v_add_u32_e32 v2, s6, v0
	v_cmp_gt_i32_e32 vcc, s8, v2
	s_and_saveexec_b64 s[6:7], vcc
	s_cbranch_execz .LBB13_48
; %bb.1:
	s_load_dwordx2 s[6:7], s[4:5], 0x30
	v_ashrrev_i32_e32 v3, 31, v2
	v_lshlrev_b64 v[4:5], 2, v[2:3]
	s_waitcnt lgkmcnt(0)
	v_mov_b32_e32 v0, s7
	v_add_co_u32_e32 v6, vcc, s6, v4
	v_addc_co_u32_e32 v7, vcc, v0, v5, vcc
	s_mov_b32 s6, 0xbf200
	buffer_store_dword v6, off, s[0:3], s6  ; 4-byte Folded Spill
	s_nop 0
	buffer_store_dword v7, off, s[0:3], s6 offset:4 ; 4-byte Folded Spill
	global_load_dword v0, v[6:7], off
	s_waitcnt vmcnt(0)
	v_cmp_eq_u32_e32 vcc, -3, v0
	s_and_b64 exec, exec, vcc
	s_cbranch_execz .LBB13_48
; %bb.2:
	s_load_dwordx8 s[8:15], s[4:5], 0x8
	v_lshlrev_b64 v[2:3], 3, v[2:3]
	s_load_dword s16, s[4:5], 0x28
	s_waitcnt lgkmcnt(0)
	v_mov_b32_e32 v1, s9
	v_add_co_u32_e32 v0, vcc, s8, v4
	v_addc_co_u32_e32 v1, vcc, v1, v5, vcc
	v_mov_b32_e32 v6, s15
	v_add_co_u32_e32 v4, vcc, s14, v4
	v_addc_co_u32_e32 v5, vcc, v6, v5, vcc
	global_load_dword v0, v[0:1], off
	v_add_co_u32_e32 v2, vcc, s10, v2
	global_load_dword v1, v[4:5], off
	v_mov_b32_e32 v4, s11
	v_addc_co_u32_e32 v3, vcc, v4, v3, vcc
	global_load_dwordx2 v[2:3], v[2:3], off
	s_ashr_i32 s17, s16, 31
	s_lshl_b64 s[6:7], s[16:17], 2
	s_add_u32 s18, s8, s6
	s_addc_u32 s19, s9, s7
	s_add_u32 s6, s14, s6
	s_addc_u32 s7, s15, s7
	s_load_dword s8, s[6:7], 0x0
	s_lshl_b64 s[6:7], s[16:17], 3
	s_add_u32 s10, s10, s6
	s_addc_u32 s11, s11, s7
	s_load_dwordx2 s[6:7], s[10:11], 0x0
	s_load_dword s9, s[18:19], 0x0
	s_mov_b32 s10, 1
	v_mov_b32_e32 v4, 0
.LBB13_3:                               ; =>This Inner Loop Header: Depth=1
	s_add_i32 s11, s10, 16
	s_add_i32 s11, s11, -1
	v_mov_b32_e32 v5, s11
	s_add_i32 s11, s10, 1
	s_cmpk_lt_u32 s10, 0x1770
	s_mov_b32 s10, s11
	buffer_store_byte v4, v5, s[0:3], 0 offen
	s_cbranch_scc1 .LBB13_3
; %bb.4:
	s_mov_b32 s10, 1
	v_mov_b32_e32 v4, 0
.LBB13_5:                               ; =>This Inner Loop Header: Depth=1
	s_add_i32 s11, s10, 0x1780
	s_add_i32 s11, s11, -1
	v_mov_b32_e32 v5, s11
	s_add_i32 s11, s10, 1
	s_cmpk_lt_u32 s10, 0x1770
	s_mov_b32 s10, s11
	buffer_store_byte v4, v5, s[0:3], 0 offen
	s_cbranch_scc1 .LBB13_5
; %bb.6:
	v_mov_b32_e32 v4, 0
	v_mov_b32_e32 v5, 0x2ef0
	buffer_store_dword v4, v5, s[0:3], 0 offen offset:140
	v_mov_b32_e32 v5, 0x2ef0
	buffer_store_dword v4, v5, s[0:3], 0 offen offset:136
	;; [unrolled: 2-line block ×10, first 2 shown]
	v_mov_b32_e32 v5, 0x2ef0
	s_waitcnt vmcnt(13)
	v_sub_u32_e32 v1, v0, v1
	buffer_store_dword v4, v5, s[0:3], 0 offen offset:100
	v_mov_b32_e32 v5, 0x2ef0
	buffer_store_dword v4, v5, s[0:3], 0 offen offset:96
	v_mov_b32_e32 v5, 0x2ef0
	v_cmp_lt_i32_e32 vcc, -16, v1
	buffer_store_dword v4, v5, s[0:3], 0 offen offset:144
	s_and_b64 exec, exec, vcc
	s_cbranch_execz .LBB13_48
; %bb.7:
	s_load_dword s4, s[4:5], 0x0
	v_cvt_f32_i32_e32 v0, v0
	v_ashrrev_i32_e32 v4, 31, v1
	v_lshrrev_b32_e32 v4, 28, v4
	s_waitcnt lgkmcnt(0)
	s_sub_i32 s17, s9, s8
	v_mul_f32_e32 v0, s4, v0
	v_ceil_f32_e32 v0, v0
	v_cvt_i32_f32_e32 v0, v0
	s_mov_b32 s4, 0xbf400
	s_mov_b64 s[10:11], 0
	v_mov_b32_e32 v12, 0
	buffer_store_dword v0, off, s[0:3], s4  ; 4-byte Folded Spill
	v_add_u32_e32 v0, v1, v4
	s_ashr_i32 s4, s7, 31
	s_waitcnt vmcnt(16)
	v_ashrrev_i32_e32 v4, 31, v3
	s_lshr_b32 s4, s4, 28
	v_lshrrev_b32_e32 v4, 28, v4
	s_add_u32 s4, s6, s4
	v_add_co_u32_e32 v2, vcc, v2, v4
	s_addc_u32 s5, s7, 0
	v_addc_co_u32_e32 v3, vcc, 0, v3, vcc
	s_lshr_b64 s[8:9], s[4:5], 4
	v_alignbit_b32 v2, v3, v2, 4
	s_mov_b32 s4, 0xbf700
	v_ashrrev_i32_e32 v5, 4, v0
	buffer_store_dword v2, off, s[0:3], s4  ; 4-byte Folded Spill
	s_ashr_i32 s4, s17, 31
	v_and_b32_e32 v0, 0x3ffffff0, v0
	s_lshr_b32 s4, s4, 28
	v_sub_u32_e32 v0, v1, v0
	s_add_i32 s4, s17, s4
	v_lshlrev_b32_e32 v0, 2, v0
	s_ashr_i32 s9, s4, 4
	v_add_u32_e32 v1, 0x2ef0, v0
	s_mov_b32 s4, 0xbed00
	buffer_store_dword v1, off, s[0:3], s4  ; 4-byte Folded Spill
	v_add_u32_e32 v0, 0x2f40, v0
	s_mov_b32 s4, 0xbf500
	s_cmp_gt_i32 s17, -16
	buffer_store_dword v0, off, s[0:3], s4  ; 4-byte Folded Spill
	v_mov_b32_e32 v0, s13
	s_mov_b32 s4, 0xbf800
	buffer_store_dword v0, off, s[0:3], s4  ; 4-byte Folded Spill
	s_cselect_b64 s[4:5], -1, 0
	v_cndmask_b32_e64 v0, 0, 1, s[4:5]
	v_cmp_ne_u32_e64 s[4:5], 1, v0
	v_mov_b32_e32 v3, 0
	s_mov_b32 s6, 0xbf900
	buffer_store_dword v5, off, s[0:3], s6  ; 4-byte Folded Spill
	s_branch .LBB13_11
.LBB13_8:                               ;   in Loop: Header=BB13_11 Depth=1
	s_or_b64 exec, exec, s[18:19]
	s_mov_b32 s6, 0xbf900
	buffer_load_dword v5, off, s[0:3], s6   ; 4-byte Folded Reload
	s_mov_b32 s6, 0xbf600
	buffer_load_dword v3, off, s[0:3], s6   ; 4-byte Folded Reload
	;; [unrolled: 2-line block ×3, first 2 shown]
.LBB13_9:                               ;   in Loop: Header=BB13_11 Depth=1
	v_cmp_ne_u32_e32 vcc, 23, v7
	v_cndmask_b32_e32 v7, 0, v7, vcc
.LBB13_10:                              ;   in Loop: Header=BB13_11 Depth=1
	s_or_b64 exec, exec, s[14:15]
	v_cmp_ne_u32_e32 vcc, 0, v7
	s_waitcnt vmcnt(1)
	v_cmp_ge_i32_e64 s[6:7], v3, v5
	s_or_b64 s[6:7], vcc, s[6:7]
	v_add_u32_e32 v0, 1, v3
	s_and_b64 s[6:7], exec, s[6:7]
	s_or_b64 s[10:11], s[6:7], s[10:11]
	v_mov_b32_e32 v3, v0
	s_andn2_b64 exec, exec, s[10:11]
	s_cbranch_execz .LBB13_47
.LBB13_11:                              ; =>This Loop Header: Depth=1
                                        ;     Child Loop BB13_14 Depth 2
                                        ;       Child Loop BB13_16 Depth 3
                                        ;     Child Loop BB13_33 Depth 2
                                        ;       Child Loop BB13_35 Depth 3
	s_waitcnt vmcnt(0)
	v_mov_b32_e32 v2, 0
	v_mov_b32_e32 v0, 0x2ef0
	buffer_store_dword v2, v0, s[0:3], 0 offen
	v_mov_b32_e32 v0, 0x2ef0
	buffer_store_dword v2, v0, s[0:3], 0 offen offset:80
	v_mov_b32_e32 v0, 0x2ef0
	buffer_store_dword v2, v0, s[0:3], 0 offen offset:4
	;; [unrolled: 2-line block ×21, first 2 shown]
	v_mov_b32_e32 v0, 0x2ef0
	s_mov_b32 s6, 0xbf700
	buffer_store_dword v2, v0, s[0:3], 0 offen offset:60
	buffer_load_dword v0, off, s[0:3], s6   ; 4-byte Folded Reload
	s_mov_b32 s6, 0xbf800
	v_mov_b32_e32 v7, 8
	s_waitcnt vmcnt(0)
	v_add_u32_e32 v0, v3, v0
	v_ashrrev_i32_e32 v1, 31, v0
	v_lshlrev_b64 v[0:1], 2, v[0:1]
	v_add_co_u32_e32 v8, vcc, s12, v0
	buffer_load_dword v0, off, s[0:3], s6   ; 4-byte Folded Reload
	s_waitcnt vmcnt(0)
	v_addc_co_u32_e32 v9, vcc, v0, v1, vcc
	s_and_b64 vcc, exec, s[4:5]
	s_cbranch_vccnz .LBB13_29
; %bb.12:                               ;   in Loop: Header=BB13_11 Depth=1
	s_mov_b32 s6, 0xbee00
	buffer_store_dword v8, off, s[0:3], s6  ; 4-byte Folded Spill
	s_nop 0
	buffer_store_dword v9, off, s[0:3], s6 offset:4 ; 4-byte Folded Spill
	s_mov_b32 s6, 0xbf600
	buffer_store_dword v3, off, s[0:3], s6  ; 4-byte Folded Spill
	v_cmp_eq_u32_e32 vcc, v3, v5
	v_mov_b32_e32 v47, 0
	s_mov_b64 s[14:15], 0
	s_mov_b32 s26, 0
	v_mov_b32_e32 v48, 0
	v_mov_b32_e32 v49, 0
	;; [unrolled: 1-line block ×15, first 2 shown]
	s_mov_b32 s6, 0xbe100
	v_mov_b32_e32 v23, 0
	v_mov_b32_e32 v28, 0
	buffer_store_dword v0, off, s[0:3], s6  ; 4-byte Folded Spill
	global_load_dword v14, v[8:9], off
	s_branch .LBB13_14
.LBB13_13:                              ;   in Loop: Header=BB13_14 Depth=2
	s_or_b64 exec, exec, s[20:21]
	s_and_b64 s[6:7], exec, s[18:19]
	s_or_b64 s[14:15], s[6:7], s[14:15]
	s_mov_b32 s6, 0xbe200
	buffer_load_dword v47, off, s[0:3], s6  ; 4-byte Folded Reload
	s_mov_b32 s6, 0xbe300
	buffer_load_dword v48, off, s[0:3], s6  ; 4-byte Folded Reload
	;; [unrolled: 2-line block ×9, first 2 shown]
	s_andn2_b64 exec, exec, s[14:15]
	s_cbranch_execz .LBB13_28
.LBB13_14:                              ;   Parent Loop BB13_11 Depth=1
                                        ; =>  This Loop Header: Depth=2
                                        ;       Child Loop BB13_16 Depth 3
	s_add_i32 s6, s26, s8
	s_ashr_i32 s7, s6, 31
	v_mov_b32_e32 v0, 0x1780
	s_lshl_b64 s[6:7], s[6:7], 2
	v_lshl_add_u32 v0, v28, 1, v0
	s_add_u32 s6, s12, s6
	buffer_load_sshort v1, v0, s[0:3], 0 offen
	s_addc_u32 s7, s13, s7
	v_mov_b32_e32 v0, 0
	global_load_dword v0, v0, s[6:7]
	s_mov_b32 s6, 0xbec00
	v_mov_b32_e32 v62, 30
	s_mov_b64 s[18:19], 0
	v_mov_b32_e32 v36, v30
	v_mov_b32_e32 v35, v25
	;; [unrolled: 1-line block ×7, first 2 shown]
	s_waitcnt vmcnt(0)
	buffer_store_dword v0, off, s[0:3], s6  ; 4-byte Folded Spill
	s_mov_b32 s6, 0xbe200
	buffer_store_dword v47, off, s[0:3], s6 ; 4-byte Folded Spill
	s_mov_b32 s6, 0xbe300
	buffer_store_dword v48, off, s[0:3], s6 ; 4-byte Folded Spill
	;; [unrolled: 2-line block ×9, first 2 shown]
	s_mov_b32 s6, 0xbeb00
	v_mov_b32_e32 v0, 0x2ef0
	buffer_store_dword v1, off, s[0:3], s6  ; 4-byte Folded Spill
	buffer_store_dword v1, v0, s[0:3], 0 offen
	s_branch .LBB13_16
.LBB13_15:                              ;   in Loop: Header=BB13_16 Depth=3
	s_or_b64 exec, exec, s[22:23]
	s_and_b64 s[6:7], exec, s[6:7]
	s_or_b64 s[18:19], s[6:7], s[18:19]
	s_andn2_b64 exec, exec, s[18:19]
	s_cbranch_execz .LBB13_26
.LBB13_16:                              ;   Parent Loop BB13_11 Depth=1
                                        ;     Parent Loop BB13_14 Depth=2
                                        ; =>    This Inner Loop Header: Depth=3
	v_lshlrev_b32_e32 v10, 1, v28
	v_add_u32_e32 v2, 0x1780, v10
	s_mov_b32 s6, 0xbec00
	buffer_load_sshort v63, v2, s[0:3], 0 offen offset:2
	buffer_load_dword v0, off, s[0:3], s6   ; 4-byte Folded Reload
	s_waitcnt vmcnt(12)
	v_lshrrev_b32_e32 v1, 30, v14
	s_mov_b32 s20, 0xbeb00
	v_lshrrev_b32_e32 v3, 26, v14
	v_lshrrev_b32_e32 v5, 22, v14
	v_lshrrev_b32_e32 v6, 20, v14
	v_lshrrev_b32_e32 v8, 18, v14
	v_lshrrev_b32_e32 v11, 14, v14
	v_lshrrev_b32_e32 v15, 12, v14
	v_lshrrev_b32_e32 v16, 10, v14
	v_lshrrev_b32_e32 v17, 8, v14
	v_lshrrev_b32_e32 v18, 6, v14
	v_add_u32_e32 v7, 1, v28
	s_mov_b64 s[22:23], 0
	s_waitcnt vmcnt(0)
	v_lshrrev_b32_e32 v12, v62, v0
	v_bfe_u32 v0, v0, v62, 2
	v_cmp_eq_u32_e64 s[6:7], v1, v0
	buffer_load_dword v0, off, s[0:3], s20  ; 4-byte Folded Reload
	v_lshrrev_b32_e32 v1, 28, v14
	v_xor_b32_e32 v1, v1, v12
	v_and_b32_e32 v1, 3, v1
	v_xor_b32_e32 v3, v3, v12
	v_and_b32_e32 v3, 3, v3
	v_xor_b32_sdwa v4, v14, v12 dst_sel:DWORD dst_unused:UNUSED_PAD src0_sel:BYTE_3 src1_sel:DWORD
	v_and_b32_e32 v4, 3, v4
	v_xor_b32_e32 v5, v5, v12
	v_and_b32_e32 v5, 3, v5
	v_xor_b32_e32 v6, v6, v12
	;; [unrolled: 2-line block ×3, first 2 shown]
	v_and_b32_e32 v8, 3, v8
	v_xor_b32_sdwa v9, v14, v12 dst_sel:DWORD dst_unused:UNUSED_PAD src0_sel:WORD_1 src1_sel:DWORD
	v_and_b32_e32 v9, 3, v9
	v_xor_b32_e32 v11, v11, v12
	v_and_b32_e32 v11, 3, v11
	v_xor_b32_e32 v15, v15, v12
	;; [unrolled: 2-line block ×5, first 2 shown]
	v_and_b32_e32 v18, 3, v18
                                        ; implicit-def: $sgpr20_sgpr21
	s_waitcnt vmcnt(0)
	v_addc_co_u32_e64 v0, s[6:7], 0, v0, s[6:7]
	v_cmp_eq_u32_e64 s[6:7], 0, v1
	v_addc_co_u32_e64 v19, s[6:7], 0, v31, s[6:7]
	v_cmp_eq_u32_e64 s[6:7], 0, v3
	;; [unrolled: 2-line block ×7, first 2 shown]
	v_addc_co_u32_e64 v22, s[6:7], 0, v37, s[6:7]
	v_mov_b32_e32 v1, 0x2ef0
	v_cmp_eq_u32_e64 s[6:7], 0, v11
	buffer_store_dword v63, v1, s[0:3], 0 offen offset:80
	v_max3_i32 v1, v0, v63, v31
	v_mov_b32_e32 v0, 0x2ef0
	v_addc_co_u32_e64 v24, s[6:7], 0, v38, s[6:7]
	buffer_store_dword v1, v0, s[0:3], 0 offen offset:84
	v_max3_i32 v5, v19, v1, v34
	v_mov_b32_e32 v0, 0x2ef0
	v_cmp_eq_u32_e64 s[6:7], 0, v15
	buffer_store_dword v5, v0, s[0:3], 0 offen offset:88
	v_max3_i32 v9, v3, v5, v33
	v_mov_b32_e32 v0, 0x2ef0
	v_addc_co_u32_e64 v42, s[6:7], 0, v39, s[6:7]
	buffer_store_dword v9, v0, s[0:3], 0 offen offset:92
	v_max3_i32 v11, v4, v9, v32
	;; [unrolled: 8-line block ×4, first 2 shown]
	v_mov_b32_e32 v0, 0x2ef0
	v_cmp_eq_u32_e64 s[6:7], 0, v18
	buffer_store_dword v17, v0, s[0:3], 0 offen offset:112
	v_max3_i32 v18, v24, v17, v39
	v_mov_b32_e32 v0, 0x2ef0
	buffer_store_dword v18, v0, s[0:3], 0 offen offset:116
	v_max3_i32 v19, v42, v18, v40
	v_mov_b32_e32 v0, 0x2ef0
	;; [unrolled: 3-line block ×3, first 2 shown]
	v_addc_co_u32_e64 v45, s[6:7], 0, v50, s[6:7]
	buffer_store_dword v20, v0, s[0:3], 0 offen offset:124
	v_max3_i32 v21, v44, v20, v50
	v_mov_b32_e32 v0, 0x2ef0
	buffer_store_dword v21, v0, s[0:3], 0 offen offset:128
	v_max3_i32 v3, v45, v21, v49
	v_mov_b32_e32 v0, 0x2ef0
	buffer_store_dword v3, v0, s[0:3], 0 offen offset:132
	v_lshrrev_b32_e32 v0, 4, v14
	v_xor_b32_e32 v0, v0, v12
	v_and_b32_e32 v0, 3, v0
	v_cmp_eq_u32_e64 s[6:7], 0, v0
	v_addc_co_u32_e64 v0, s[6:7], 0, v49, s[6:7]
	v_max3_i32 v4, v0, v3, v48
	v_mov_b32_e32 v0, 0x2ef0
	buffer_store_dword v4, v0, s[0:3], 0 offen offset:136
	v_lshrrev_b32_e32 v0, 2, v14
	v_xor_b32_e32 v0, v0, v12
	v_and_b32_e32 v0, 3, v0
	v_cmp_eq_u32_e64 s[6:7], 0, v0
	v_addc_co_u32_e64 v0, s[6:7], 0, v48, s[6:7]
	v_max3_i32 v0, v0, v4, v47
	v_mov_b32_e32 v6, 0x2ef0
	buffer_store_dword v0, v6, s[0:3], 0 offen offset:140
	v_xor_b32_e32 v6, v14, v12
	v_and_b32_e32 v6, 3, v6
	v_cmp_eq_u32_e64 s[6:7], 0, v6
	v_addc_co_u32_e64 v6, s[6:7], 0, v47, s[6:7]
	v_max3_i32 v12, v6, v0, v46
	v_add_u32_e32 v22, 16, v10
	v_cmp_ne_u32_e64 s[6:7], s17, v7
	buffer_store_short v12, v22, s[0:3], 0 offen offset:2
                                        ; implicit-def: $vgpr10
                                        ; implicit-def: $vgpr7
	s_and_saveexec_b64 s[24:25], s[6:7]
	s_xor_b64 s[24:25], exec, s[24:25]
	s_cbranch_execz .LBB13_20
; %bb.17:                               ;   in Loop: Header=BB13_16 Depth=3
	s_mov_b32 s6, 0xbec00
	buffer_load_sshort v34, v2, s[0:3], 0 offen offset:4
	buffer_load_dword v6, off, s[0:3], s6   ; 4-byte Folded Reload
	v_add_u32_e32 v10, -2, v62
	v_lshrrev_b32_e32 v7, 30, v14
	v_lshrrev_b32_e32 v13, 26, v14
	;; [unrolled: 1-line block ×10, first 2 shown]
	v_add_u32_e32 v28, 2, v28
	s_mov_b64 s[20:21], -1
	s_waitcnt vmcnt(0)
	v_lshrrev_b32_e32 v2, v10, v6
	v_bfe_u32 v6, v6, v10, 2
	v_cmp_eq_u32_e64 s[6:7], v7, v6
	v_lshrrev_b32_e32 v7, 28, v14
	v_xor_b32_e32 v7, v7, v2
	v_addc_co_u32_e64 v6, s[6:7], 0, v63, s[6:7]
	v_and_b32_e32 v7, 3, v7
	v_xor_b32_e32 v13, v13, v2
	v_cmp_eq_u32_e64 s[6:7], 0, v7
	v_and_b32_e32 v13, 3, v13
	v_addc_co_u32_e64 v7, s[6:7], 0, v1, s[6:7]
	v_xor_b32_sdwa v23, v14, v2 dst_sel:DWORD dst_unused:UNUSED_PAD src0_sel:BYTE_3 src1_sel:DWORD
	v_cmp_eq_u32_e64 s[6:7], 0, v13
	v_and_b32_e32 v23, 3, v23
	v_addc_co_u32_e64 v13, s[6:7], 0, v5, s[6:7]
	v_xor_b32_e32 v24, v24, v2
	v_cmp_eq_u32_e64 s[6:7], 0, v23
	v_and_b32_e32 v24, 3, v24
	v_addc_co_u32_e64 v23, s[6:7], 0, v9, s[6:7]
	v_xor_b32_e32 v25, v25, v2
	v_cmp_eq_u32_e64 s[6:7], 0, v24
	v_and_b32_e32 v25, 3, v25
	v_addc_co_u32_e64 v24, s[6:7], 0, v11, s[6:7]
	v_xor_b32_e32 v26, v26, v2
	v_cmp_eq_u32_e64 s[6:7], 0, v25
	v_and_b32_e32 v26, 3, v26
	v_addc_co_u32_e64 v25, s[6:7], 0, v8, s[6:7]
	v_xor_b32_sdwa v27, v14, v2 dst_sel:DWORD dst_unused:UNUSED_PAD src0_sel:WORD_1 src1_sel:DWORD
	v_cmp_eq_u32_e64 s[6:7], 0, v26
	v_and_b32_e32 v27, 3, v27
	v_addc_co_u32_e64 v26, s[6:7], 0, v15, s[6:7]
	v_xor_b32_e32 v29, v29, v2
	v_cmp_eq_u32_e64 s[6:7], 0, v27
	v_and_b32_e32 v29, 3, v29
	v_addc_co_u32_e64 v27, s[6:7], 0, v16, s[6:7]
	v_xor_b32_e32 v30, v30, v2
	;; [unrolled: 4-line block ×5, first 2 shown]
	v_cmp_eq_u32_e64 s[6:7], 0, v32
	v_and_b32_e32 v33, 3, v33
	v_addc_co_u32_e64 v42, s[6:7], 0, v20, s[6:7]
	v_cmp_eq_u32_e64 s[6:7], 0, v33
	v_addc_co_u32_e64 v43, s[6:7], 0, v21, s[6:7]
	v_mov_b32_e32 v31, 0x2ef0
	buffer_store_dword v34, v31, s[0:3], 0 offen
	s_mov_b32 s6, 0xbeb00
	v_max3_i32 v31, v6, v34, v1
	v_mov_b32_e32 v1, 0x2ef0
	buffer_store_dword v34, off, s[0:3], s6 ; 4-byte Folded Spill
	buffer_store_dword v31, v1, s[0:3], 0 offen offset:4
	v_max3_i32 v34, v7, v31, v5
	v_mov_b32_e32 v1, 0x2ef0
	buffer_store_dword v34, v1, s[0:3], 0 offen offset:8
	v_max3_i32 v33, v13, v34, v9
	v_mov_b32_e32 v1, 0x2ef0
	;; [unrolled: 3-line block ×12, first 2 shown]
	buffer_store_dword v49, v1, s[0:3], 0 offen offset:52
	v_lshrrev_b32_e32 v1, 4, v14
	v_xor_b32_e32 v1, v1, v2
	v_and_b32_e32 v1, 3, v1
	v_cmp_eq_u32_e64 s[6:7], 0, v1
	v_addc_co_u32_e64 v1, s[6:7], 0, v3, s[6:7]
	v_max3_i32 v48, v1, v49, v4
	v_mov_b32_e32 v1, 0x2ef0
	buffer_store_dword v48, v1, s[0:3], 0 offen offset:56
	v_lshrrev_b32_e32 v1, 2, v14
	v_xor_b32_e32 v1, v1, v2
	v_and_b32_e32 v1, 3, v1
	v_cmp_eq_u32_e64 s[6:7], 0, v1
	v_addc_co_u32_e64 v1, s[6:7], 0, v4, s[6:7]
	v_max3_i32 v47, v1, v48, v0
	v_mov_b32_e32 v1, 0x2ef0
	buffer_store_dword v47, v1, s[0:3], 0 offen offset:60
	v_xor_b32_e32 v1, v14, v2
	v_and_b32_e32 v1, 3, v1
	v_cmp_eq_u32_e64 s[6:7], 0, v1
	v_addc_co_u32_e64 v0, s[6:7], 0, v0, s[6:7]
	v_max3_i32 v46, v0, v47, v12
	v_cmp_eq_u32_e64 s[6:7], s17, v28
	v_mov_b32_e32 v7, 0
	buffer_store_short v46, v22, s[0:3], 0 offen offset:4
	s_and_saveexec_b64 s[28:29], s[6:7]
	s_xor_b64 s[6:7], exec, s[28:29]
; %bb.18:                               ;   in Loop: Header=BB13_16 Depth=3
	v_mov_b32_e32 v7, 11
	v_mov_b32_e32 v28, s17
	s_xor_b64 s[20:21], exec, -1
	s_and_b64 s[22:23], vcc, exec
; %bb.19:                               ;   in Loop: Header=BB13_16 Depth=3
	s_or_b64 exec, exec, s[6:7]
                                        ; implicit-def: $vgpr0
                                        ; kill: killed $vgpr0
	s_and_b64 s[22:23], s[22:23], exec
                                        ; implicit-def: $vgpr0
                                        ; kill: killed $vgpr0
                                        ; implicit-def: $vgpr30
                                        ; implicit-def: $vgpr25
                                        ; implicit-def: $vgpr29
                                        ; implicit-def: $vgpr27
                                        ; implicit-def: $vgpr26
                                        ; implicit-def: $vgpr13
                                        ; implicit-def: $vgpr23
                                        ; implicit-def: $vgpr62
                                        ; implicit-def: $vgpr0
                                        ; kill: killed $vgpr0
                                        ; implicit-def: $vgpr0
                                        ; kill: killed $vgpr0
	;; [unrolled: 2-line block ×8, first 2 shown]
.LBB13_20:                              ;   in Loop: Header=BB13_16 Depth=3
	s_or_saveexec_b64 s[6:7], s[24:25]
	s_mov_b32 s24, 0xbed00
	buffer_load_dword v1, off, s[0:3], s24  ; 4-byte Folded Reload
	v_mov_b32_e32 v63, v46
	v_mov_b32_e32 v2, v46
	;; [unrolled: 1-line block ×34, first 2 shown]
	s_xor_b64 exec, exec, s[6:7]
	s_cbranch_execz .LBB13_22
; %bb.21:                               ;   in Loop: Header=BB13_16 Depth=3
	s_andn2_b64 s[22:23], s[22:23], exec
	s_and_b64 s[24:25], vcc, exec
	s_or_b64 s[22:23], s[22:23], s[24:25]
	s_mov_b32 s24, 0xbe100
	buffer_load_dword v24, off, s[0:3], s24 ; 4-byte Folded Reload
	s_mov_b32 s24, 0xbf500
	buffer_load_dword v1, off, s[0:3], s24  ; 4-byte Folded Reload
	s_mov_b32 s24, 0xbea00
	buffer_load_dword v55, off, s[0:3], s24 ; 4-byte Folded Reload
	s_mov_b32 s24, 0xbe900
	buffer_load_dword v54, off, s[0:3], s24 ; 4-byte Folded Reload
	;; [unrolled: 2-line block ×9, first 2 shown]
	v_mov_b32_e32 v7, 11
	v_mov_b32_e32 v28, s17
	s_andn2_b64 s[20:21], s[20:21], exec
	v_mov_b32_e32 v10, v62
	v_mov_b32_e32 v63, v23
	;; [unrolled: 1-line block ×15, first 2 shown]
	s_waitcnt vmcnt(10)
	v_mov_b32_e32 v2, v24
	s_waitcnt vmcnt(8)
	v_mov_b32_e32 v11, v55
	s_waitcnt vmcnt(7)
	v_mov_b32_e32 v15, v54
	s_waitcnt vmcnt(6)
	v_mov_b32_e32 v16, v53
	s_waitcnt vmcnt(5)
	v_mov_b32_e32 v17, v52
	s_waitcnt vmcnt(4)
	v_mov_b32_e32 v18, v51
	s_waitcnt vmcnt(3)
	v_mov_b32_e32 v19, v42
	s_waitcnt vmcnt(2)
	v_mov_b32_e32 v20, v43
	s_waitcnt vmcnt(1)
	v_mov_b32_e32 v21, v44
	s_waitcnt vmcnt(0)
	v_mov_b32_e32 v22, v45
.LBB13_22:                              ;   in Loop: Header=BB13_16 Depth=3
	s_or_b64 exec, exec, s[6:7]
	s_mov_b32 s6, 0xbe200
	buffer_store_dword v45, off, s[0:3], s6 ; 4-byte Folded Spill
	s_mov_b32 s6, 0xbe300
	buffer_store_dword v44, off, s[0:3], s6 ; 4-byte Folded Spill
	;; [unrolled: 2-line block ×9, first 2 shown]
	v_mov_b32_e32 v30, v56
	v_mov_b32_e32 v25, v57
	;; [unrolled: 1-line block ×6, first 2 shown]
	s_mov_b32 s6, 0xbe100
	v_mov_b32_e32 v23, v6
	buffer_store_dword v24, off, s[0:3], s6 ; 4-byte Folded Spill
	s_and_saveexec_b64 s[24:25], s[22:23]
	s_cbranch_execz .LBB13_24
; %bb.23:                               ;   in Loop: Header=BB13_16 Depth=3
	s_mov_b32 s6, 0xbf400
	s_waitcnt vmcnt(10)
	buffer_load_dword v1, v1, s[0:3], 0 offen
	v_mov_b32_e32 v28, s17
	buffer_load_dword v6, off, s[0:3], s6   ; 4-byte Folded Reload
	s_andn2_b64 s[20:21], s[20:21], exec
	v_mov_b32_e32 v30, v9
	v_mov_b32_e32 v25, v8
	;; [unrolled: 1-line block ×7, first 2 shown]
	s_waitcnt vmcnt(0)
	v_cmp_ge_i32_e64 s[6:7], v1, v6
	v_mov_b32_e32 v1, s16
	v_cndmask_b32_e64 v1, -1, v1, s[6:7]
	s_mov_b32 s6, 0xbf200
	s_nop 1
	buffer_load_dword v6, off, s[0:3], s6   ; 4-byte Folded Reload
	buffer_load_dword v7, off, s[0:3], s6 offset:4 ; 4-byte Folded Reload
	s_mov_b32 s6, 0xbe200
	buffer_store_dword v22, off, s[0:3], s6 ; 4-byte Folded Spill
	s_mov_b32 s6, 0xbe300
	buffer_store_dword v21, off, s[0:3], s6 ; 4-byte Folded Spill
	;; [unrolled: 2-line block ×9, first 2 shown]
	s_mov_b32 s6, 0xbe100
	buffer_store_dword v2, off, s[0:3], s6  ; 4-byte Folded Spill
	s_waitcnt vmcnt(10)
	global_store_dword v[6:7], v1, off
	v_mov_b32_e32 v7, 1
.LBB13_24:                              ;   in Loop: Header=BB13_16 Depth=3
	s_or_b64 exec, exec, s[24:25]
	s_mov_b64 s[6:7], -1
                                        ; implicit-def: $vgpr62
	s_and_saveexec_b64 s[22:23], s[20:21]
	s_cbranch_execz .LBB13_15
; %bb.25:                               ;   in Loop: Header=BB13_16 Depth=3
	v_cmp_gt_i32_e64 s[6:7], 2, v10
	v_add_u32_e32 v62, -2, v10
	v_mov_b32_e32 v7, 11
	s_orn2_b64 s[6:7], s[6:7], exec
	s_branch .LBB13_15
.LBB13_26:                              ;   in Loop: Header=BB13_14 Depth=2
	s_or_b64 exec, exec, s[18:19]
	v_cmp_eq_u32_e64 s[6:7], 11, v7
	s_mov_b64 s[18:19], -1
	s_and_saveexec_b64 s[20:21], s[6:7]
	s_cbranch_execz .LBB13_13
; %bb.27:                               ;   in Loop: Header=BB13_14 Depth=2
	s_add_i32 s22, s26, 1
	s_cmp_eq_u32 s26, s9
	s_cselect_b64 s[6:7], -1, 0
	v_mov_b32_e32 v7, 8
	s_orn2_b64 s[18:19], s[6:7], exec
	s_mov_b32 s26, s22
	s_branch .LBB13_13
.LBB13_28:                              ;   in Loop: Header=BB13_11 Depth=1
	s_or_b64 exec, exec, s[14:15]
	s_mov_b32 s6, 0xbf900
	buffer_load_dword v5, off, s[0:3], s6   ; 4-byte Folded Reload
	s_mov_b32 s6, 0xbf600
	buffer_load_dword v3, off, s[0:3], s6   ; 4-byte Folded Reload
	s_mov_b32 s6, 0xbe100
	buffer_load_dword v2, off, s[0:3], s6   ; 4-byte Folded Reload
	s_mov_b32 s6, 0xbee00
	buffer_load_dword v8, off, s[0:3], s6   ; 4-byte Folded Reload
	buffer_load_dword v9, off, s[0:3], s6 offset:4 ; 4-byte Folded Reload
.LBB13_29:                              ;   in Loop: Header=BB13_11 Depth=1
	v_cmp_eq_u32_e32 vcc, 8, v7
	s_and_saveexec_b64 s[14:15], vcc
	s_cbranch_execz .LBB13_10
; %bb.30:                               ;   in Loop: Header=BB13_11 Depth=1
	s_waitcnt vmcnt(2)
	v_mov_b32_e32 v2, 0
	v_mov_b32_e32 v0, 0x2ef0
	buffer_store_dword v2, v0, s[0:3], 0 offen
	v_mov_b32_e32 v0, 0x2ef0
	buffer_store_dword v2, v0, s[0:3], 0 offen offset:80
	v_mov_b32_e32 v0, 0x2ef0
	buffer_store_dword v2, v0, s[0:3], 0 offen offset:4
	;; [unrolled: 2-line block ×30, first 2 shown]
	v_mov_b32_e32 v0, 0x2ef0
	v_add_u32_e32 v3, 1, v3
	v_mov_b32_e32 v7, 23
	s_and_b64 vcc, exec, s[4:5]
	v_mov_b32_e32 v12, 0
	buffer_store_dword v2, v0, s[0:3], 0 offen offset:140
	s_cbranch_vccnz .LBB13_9
; %bb.31:                               ;   in Loop: Header=BB13_11 Depth=1
	s_waitcnt vmcnt(32)
	global_load_dword v2, v[8:9], off offset:4
	s_mov_b32 s6, 0xbf600
	buffer_store_dword v3, off, s[0:3], s6  ; 4-byte Folded Spill
	v_cmp_eq_u32_e32 vcc, v3, v5
	v_mov_b32_e32 v46, 0
	s_mov_b64 s[18:19], 0
	s_mov_b32 s28, 0
	v_mov_b32_e32 v47, 0
	v_mov_b32_e32 v48, 0
	;; [unrolled: 1-line block ×16, first 2 shown]
	s_mov_b32 s6, 0xbe100
	v_mov_b32_e32 v23, 0
	v_mov_b32_e32 v26, 0
	buffer_store_dword v0, off, s[0:3], s6  ; 4-byte Folded Spill
	s_branch .LBB13_33
.LBB13_32:                              ;   in Loop: Header=BB13_33 Depth=2
	s_or_b64 exec, exec, s[22:23]
	s_and_b64 s[6:7], exec, s[20:21]
	s_or_b64 s[18:19], s[6:7], s[18:19]
	s_mov_b32 s6, 0xbe200
	buffer_load_dword v46, off, s[0:3], s6  ; 4-byte Folded Reload
	s_mov_b32 s6, 0xbe300
	buffer_load_dword v47, off, s[0:3], s6  ; 4-byte Folded Reload
	;; [unrolled: 2-line block ×13, first 2 shown]
	s_andn2_b64 exec, exec, s[18:19]
	s_cbranch_execz .LBB13_8
.LBB13_33:                              ;   Parent Loop BB13_11 Depth=1
                                        ; =>  This Loop Header: Depth=2
                                        ;       Child Loop BB13_35 Depth 3
	s_add_i32 s6, s28, s8
	s_ashr_i32 s7, s6, 31
	s_lshl_b64 s[6:7], s[6:7], 2
	s_add_u32 s6, s12, s6
	s_addc_u32 s7, s13, s7
	v_mov_b32_e32 v0, 0
	global_load_dword v0, v0, s[6:7]
	s_mov_b32 s6, 0xbf100
	v_mov_b32_e32 v63, 30
	s_mov_b64 s[20:21], 0
	v_mov_b32_e32 v30, v22
	v_mov_b32_e32 v29, v27
	;; [unrolled: 1-line block ×4, first 2 shown]
	s_waitcnt vmcnt(0)
	buffer_store_dword v0, off, s[0:3], s6  ; 4-byte Folded Spill
	s_mov_b32 s6, 0xbe200
	buffer_store_dword v46, off, s[0:3], s6 ; 4-byte Folded Spill
	s_mov_b32 s6, 0xbe300
	buffer_store_dword v47, off, s[0:3], s6 ; 4-byte Folded Spill
	s_mov_b32 s6, 0xbe400
	buffer_store_dword v48, off, s[0:3], s6 ; 4-byte Folded Spill
	s_mov_b32 s6, 0xbe500
	buffer_store_dword v49, off, s[0:3], s6 ; 4-byte Folded Spill
	s_mov_b32 s6, 0xbe600
	buffer_store_dword v53, off, s[0:3], s6 ; 4-byte Folded Spill
	s_mov_b32 s6, 0xbe700
	buffer_store_dword v50, off, s[0:3], s6 ; 4-byte Folded Spill
	s_mov_b32 s6, 0xbe800
	buffer_store_dword v37, off, s[0:3], s6 ; 4-byte Folded Spill
	s_mov_b32 s6, 0xbe900
	buffer_store_dword v36, off, s[0:3], s6 ; 4-byte Folded Spill
	s_mov_b32 s6, 0xbea00
	buffer_store_dword v35, off, s[0:3], s6 ; 4-byte Folded Spill
	s_mov_b32 s6, 0xbeb00
	buffer_store_dword v34, off, s[0:3], s6 ; 4-byte Folded Spill
	s_mov_b32 s6, 0xbec00
	buffer_store_dword v33, off, s[0:3], s6 ; 4-byte Folded Spill
	s_mov_b32 s6, 0xbee00
	buffer_store_dword v32, off, s[0:3], s6 ; 4-byte Folded Spill
	s_mov_b32 s6, 0xbf000
	buffer_store_dword v31, off, s[0:3], s6 ; 4-byte Folded Spill
	s_branch .LBB13_35
.LBB13_34:                              ;   in Loop: Header=BB13_35 Depth=3
	s_or_b64 exec, exec, s[24:25]
	s_and_b64 s[6:7], exec, s[6:7]
	s_or_b64 s[20:21], s[6:7], s[20:21]
	s_andn2_b64 exec, exec, s[20:21]
	s_cbranch_execz .LBB13_45
.LBB13_35:                              ;   Parent Loop BB13_11 Depth=1
                                        ;     Parent Loop BB13_33 Depth=2
                                        ; =>    This Inner Loop Header: Depth=3
	v_lshlrev_b32_e32 v8, 1, v26
	v_add_u32_e32 v10, 16, v8
	s_mov_b32 s6, 0xbf100
	buffer_load_sshort v6, v10, s[0:3], 0 offen offset:2
	buffer_load_dword v0, off, s[0:3], s6   ; 4-byte Folded Reload
	s_waitcnt vmcnt(16)
	v_lshrrev_b32_e32 v1, 30, v2
	v_lshrrev_b32_e32 v3, 26, v2
	;; [unrolled: 1-line block ×10, first 2 shown]
	v_add_u32_e32 v7, 1, v26
	v_add_u32_e32 v8, 0x1780, v8
	s_mov_b64 s[24:25], 0
                                        ; implicit-def: $sgpr22_sgpr23
                                        ; implicit-def: $vgpr61
	s_waitcnt vmcnt(0)
	v_lshrrev_b32_e32 v12, v63, v0
	v_bfe_u32 v0, v0, v63, 2
	v_cmp_eq_u32_e64 s[6:7], v1, v0
	v_lshrrev_b32_e32 v1, 28, v2
	v_xor_b32_e32 v1, v1, v12
	v_addc_co_u32_e64 v0, s[6:7], 0, v28, s[6:7]
	v_and_b32_e32 v1, 3, v1
	v_xor_b32_e32 v3, v3, v12
	v_cmp_eq_u32_e64 s[6:7], 0, v1
	v_and_b32_e32 v3, 3, v3
	v_addc_co_u32_e64 v19, s[6:7], 0, v29, s[6:7]
	v_xor_b32_sdwa v4, v2, v12 dst_sel:DWORD dst_unused:UNUSED_PAD src0_sel:BYTE_3 src1_sel:DWORD
	v_cmp_eq_u32_e64 s[6:7], 0, v3
	v_and_b32_e32 v4, 3, v4
	v_addc_co_u32_e64 v3, s[6:7], 0, v30, s[6:7]
	v_xor_b32_e32 v5, v5, v12
	v_cmp_eq_u32_e64 s[6:7], 0, v4
	v_and_b32_e32 v5, 3, v5
	v_addc_co_u32_e64 v4, s[6:7], 0, v31, s[6:7]
	v_xor_b32_e32 v9, v9, v12
	;; [unrolled: 4-line block ×3, first 2 shown]
	v_cmp_eq_u32_e64 s[6:7], 0, v9
	v_and_b32_e32 v11, 3, v11
	v_addc_co_u32_e64 v21, s[6:7], 0, v33, s[6:7]
	v_xor_b32_sdwa v13, v2, v12 dst_sel:DWORD dst_unused:UNUSED_PAD src0_sel:WORD_1 src1_sel:DWORD
	v_cmp_eq_u32_e64 s[6:7], 0, v11
	v_and_b32_e32 v13, 3, v13
	v_addc_co_u32_e64 v11, s[6:7], 0, v34, s[6:7]
	v_xor_b32_e32 v14, v14, v12
	v_cmp_eq_u32_e64 s[6:7], 0, v13
	v_and_b32_e32 v14, 3, v14
	v_addc_co_u32_e64 v13, s[6:7], 0, v35, s[6:7]
	v_mov_b32_e32 v1, 0x2ef0
	v_xor_b32_e32 v15, v15, v12
	v_cmp_eq_u32_e64 s[6:7], 0, v14
	buffer_store_dword v6, v1, s[0:3], 0 offen offset:80
	v_max3_i32 v1, v0, v6, v29
	v_mov_b32_e32 v0, 0x2ef0
	v_and_b32_e32 v15, 3, v15
	v_addc_co_u32_e64 v25, s[6:7], 0, v36, s[6:7]
	buffer_store_dword v1, v0, s[0:3], 0 offen offset:84
	v_max3_i32 v5, v19, v1, v30
	v_mov_b32_e32 v0, 0x2ef0
	v_xor_b32_e32 v16, v16, v12
	v_cmp_eq_u32_e64 s[6:7], 0, v15
	buffer_store_dword v5, v0, s[0:3], 0 offen offset:88
	v_max3_i32 v9, v3, v5, v31
	v_mov_b32_e32 v0, 0x2ef0
	v_and_b32_e32 v16, 3, v16
	v_addc_co_u32_e64 v38, s[6:7], 0, v37, s[6:7]
	buffer_store_dword v9, v0, s[0:3], 0 offen offset:92
	v_max3_i32 v3, v4, v9, v32
	;; [unrolled: 10-line block ×4, first 2 shown]
	v_mov_b32_e32 v0, 0x2ef0
	v_cmp_eq_u32_e64 s[6:7], 0, v18
	buffer_store_dword v17, v0, s[0:3], 0 offen offset:112
	v_max3_i32 v18, v25, v17, v37
	v_mov_b32_e32 v0, 0x2ef0
	buffer_store_dword v18, v0, s[0:3], 0 offen offset:116
	v_max3_i32 v19, v38, v18, v50
	v_mov_b32_e32 v0, 0x2ef0
	;; [unrolled: 3-line block ×3, first 2 shown]
	v_addc_co_u32_e64 v41, s[6:7], 0, v49, s[6:7]
	buffer_store_dword v20, v0, s[0:3], 0 offen offset:124
	v_max3_i32 v21, v40, v20, v49
	v_mov_b32_e32 v0, 0x2ef0
	buffer_store_dword v21, v0, s[0:3], 0 offen offset:128
	v_max3_i32 v11, v41, v21, v48
	v_mov_b32_e32 v0, 0x2ef0
	buffer_store_dword v11, v0, s[0:3], 0 offen offset:132
	v_lshrrev_b32_e32 v0, 4, v2
	v_xor_b32_e32 v0, v0, v12
	v_and_b32_e32 v0, 3, v0
	v_cmp_eq_u32_e64 s[6:7], 0, v0
	v_addc_co_u32_e64 v0, s[6:7], 0, v48, s[6:7]
	v_max3_i32 v4, v0, v11, v47
	v_mov_b32_e32 v0, 0x2ef0
	buffer_store_dword v4, v0, s[0:3], 0 offen offset:136
	v_lshrrev_b32_e32 v0, 2, v2
	v_xor_b32_e32 v0, v0, v12
	v_and_b32_e32 v0, 3, v0
	v_cmp_eq_u32_e64 s[6:7], 0, v0
	v_xor_b32_e32 v12, v2, v12
	v_addc_co_u32_e64 v0, s[6:7], 0, v47, s[6:7]
	v_and_b32_e32 v12, 3, v12
	v_cmp_eq_u32_e64 s[6:7], 0, v12
	v_max3_i32 v0, v0, v4, v46
	v_addc_co_u32_e64 v12, s[6:7], 0, v46, s[6:7]
	v_mov_b32_e32 v13, 0x2ef0
	v_max3_i32 v12, v12, v0, v44
	v_cmp_ne_u32_e64 s[6:7], s17, v7
	buffer_store_dword v0, v13, s[0:3], 0 offen offset:140
	buffer_store_short v12, v8, s[0:3], 0 offen offset:2
                                        ; implicit-def: $vgpr7
	s_and_saveexec_b64 s[26:27], s[6:7]
	s_xor_b64 s[26:27], exec, s[26:27]
	s_cbranch_execz .LBB13_39
; %bb.36:                               ;   in Loop: Header=BB13_35 Depth=3
	s_mov_b32 s6, 0xbf100
	buffer_load_sshort v28, v10, s[0:3], 0 offen offset:4
	v_add_u32_e32 v61, -2, v63
	buffer_load_dword v10, off, s[0:3], s6  ; 4-byte Folded Reload
	v_lshrrev_b32_e32 v13, 30, v2
	v_lshrrev_b32_e32 v23, 22, v2
	;; [unrolled: 1-line block ×9, first 2 shown]
	v_add_u32_e32 v26, 2, v26
	s_mov_b64 s[22:23], -1
	s_waitcnt vmcnt(0)
	v_lshrrev_b32_e32 v7, v61, v10
	v_bfe_u32 v10, v10, v61, 2
	v_cmp_eq_u32_e64 s[6:7], v13, v10
	v_lshrrev_b32_e32 v10, 28, v2
	v_xor_b32_e32 v10, v10, v7
	v_addc_co_u32_e64 v6, s[6:7], 0, v6, s[6:7]
	v_lshrrev_b32_e32 v13, 26, v2
	v_and_b32_e32 v10, 3, v10
	v_xor_b32_e32 v13, v13, v7
	v_cmp_eq_u32_e64 s[6:7], 0, v10
	v_and_b32_e32 v13, 3, v13
	v_addc_co_u32_e64 v10, s[6:7], 0, v1, s[6:7]
	v_xor_b32_sdwa v22, v2, v7 dst_sel:DWORD dst_unused:UNUSED_PAD src0_sel:BYTE_3 src1_sel:DWORD
	v_cmp_eq_u32_e64 s[6:7], 0, v13
	v_and_b32_e32 v22, 3, v22
	v_addc_co_u32_e64 v13, s[6:7], 0, v5, s[6:7]
	v_xor_b32_e32 v23, v23, v7
	v_cmp_eq_u32_e64 s[6:7], 0, v22
	v_and_b32_e32 v23, 3, v23
	v_addc_co_u32_e64 v22, s[6:7], 0, v9, s[6:7]
	v_xor_b32_e32 v24, v24, v7
	;; [unrolled: 4-line block ×3, first 2 shown]
	v_cmp_eq_u32_e64 s[6:7], 0, v24
	v_and_b32_e32 v25, 3, v25
	v_addc_co_u32_e64 v24, s[6:7], 0, v14, s[6:7]
	v_xor_b32_sdwa v27, v2, v7 dst_sel:DWORD dst_unused:UNUSED_PAD src0_sel:WORD_1 src1_sel:DWORD
	v_cmp_eq_u32_e64 s[6:7], 0, v25
	v_and_b32_e32 v27, 3, v27
	v_addc_co_u32_e64 v25, s[6:7], 0, v15, s[6:7]
	v_xor_b32_e32 v29, v29, v7
	v_cmp_eq_u32_e64 s[6:7], 0, v27
	v_and_b32_e32 v29, 3, v29
	v_addc_co_u32_e64 v27, s[6:7], 0, v16, s[6:7]
	v_xor_b32_e32 v30, v30, v7
	;; [unrolled: 4-line block ×3, first 2 shown]
	v_cmp_eq_u32_e64 s[6:7], 0, v30
	v_and_b32_e32 v31, 3, v31
	v_addc_co_u32_e64 v38, s[6:7], 0, v18, s[6:7]
	v_mov_b32_e32 v29, 0x2ef0
	v_xor_b32_e32 v32, v32, v7
	v_cmp_eq_u32_e64 s[6:7], 0, v31
	buffer_store_dword v28, v29, s[0:3], 0 offen
	v_max3_i32 v29, v6, v28, v1
	v_mov_b32_e32 v1, 0x2ef0
	v_and_b32_e32 v32, 3, v32
	v_addc_co_u32_e64 v39, s[6:7], 0, v19, s[6:7]
	buffer_store_dword v29, v1, s[0:3], 0 offen offset:4
	v_max3_i32 v30, v10, v29, v5
	v_mov_b32_e32 v1, 0x2ef0
	v_xor_b32_e32 v33, v33, v7
	v_cmp_eq_u32_e64 s[6:7], 0, v32
	buffer_store_dword v30, v1, s[0:3], 0 offen offset:8
	v_max3_i32 v31, v13, v30, v9
	v_mov_b32_e32 v1, 0x2ef0
	v_and_b32_e32 v33, 3, v33
	v_addc_co_u32_e64 v40, s[6:7], 0, v20, s[6:7]
	buffer_store_dword v31, v1, s[0:3], 0 offen offset:12
	v_max3_i32 v32, v22, v31, v3
	v_mov_b32_e32 v1, 0x2ef0
	v_cmp_eq_u32_e64 s[6:7], 0, v33
	buffer_store_dword v32, v1, s[0:3], 0 offen offset:16
	v_max3_i32 v33, v23, v32, v14
	v_mov_b32_e32 v1, 0x2ef0
	buffer_store_dword v33, v1, s[0:3], 0 offen offset:20
	v_max3_i32 v34, v24, v33, v15
	v_mov_b32_e32 v1, 0x2ef0
	;; [unrolled: 3-line block ×7, first 2 shown]
	v_addc_co_u32_e64 v41, s[6:7], 0, v21, s[6:7]
	buffer_store_dword v53, v1, s[0:3], 0 offen offset:44
	v_max3_i32 v49, v40, v53, v21
	v_mov_b32_e32 v1, 0x2ef0
	buffer_store_dword v49, v1, s[0:3], 0 offen offset:48
	v_max3_i32 v48, v41, v49, v11
	v_mov_b32_e32 v1, 0x2ef0
	buffer_store_dword v48, v1, s[0:3], 0 offen offset:52
	v_lshrrev_b32_e32 v1, 4, v2
	v_xor_b32_e32 v1, v1, v7
	v_and_b32_e32 v1, 3, v1
	v_cmp_eq_u32_e64 s[6:7], 0, v1
	v_addc_co_u32_e64 v1, s[6:7], 0, v11, s[6:7]
	v_max3_i32 v47, v1, v48, v4
	v_mov_b32_e32 v1, 0x2ef0
	buffer_store_dword v47, v1, s[0:3], 0 offen offset:56
	v_lshrrev_b32_e32 v1, 2, v2
	v_xor_b32_e32 v1, v1, v7
	v_and_b32_e32 v1, 3, v1
	v_cmp_eq_u32_e64 s[6:7], 0, v1
	v_addc_co_u32_e64 v1, s[6:7], 0, v4, s[6:7]
	v_max3_i32 v46, v1, v47, v0
	v_mov_b32_e32 v1, 0x2ef0
	buffer_store_dword v46, v1, s[0:3], 0 offen offset:60
	v_xor_b32_e32 v1, v2, v7
	v_and_b32_e32 v1, 3, v1
	v_cmp_eq_u32_e64 s[6:7], 0, v1
	v_addc_co_u32_e64 v0, s[6:7], 0, v0, s[6:7]
	v_max3_i32 v44, v0, v46, v12
	v_cmp_eq_u32_e64 s[6:7], s17, v26
	v_mov_b32_e32 v7, 0
	buffer_store_short v44, v8, s[0:3], 0 offen offset:4
	s_and_saveexec_b64 s[30:31], s[6:7]
	s_xor_b64 s[6:7], exec, s[30:31]
; %bb.37:                               ;   in Loop: Header=BB13_35 Depth=3
	v_mov_b32_e32 v7, 26
	v_mov_b32_e32 v26, s17
	s_xor_b64 s[22:23], exec, -1
	s_and_b64 s[24:25], vcc, exec
; %bb.38:                               ;   in Loop: Header=BB13_35 Depth=3
	s_or_b64 exec, exec, s[6:7]
                                        ; implicit-def: $vgpr0
                                        ; kill: killed $vgpr0
	s_and_b64 s[24:25], s[24:25], exec
                                        ; implicit-def: $vgpr0
                                        ; kill: killed $vgpr0
                                        ; implicit-def: $vgpr22
                                        ; implicit-def: $vgpr27
                                        ; implicit-def: $vgpr24
                                        ; implicit-def: $vgpr23
                                        ; implicit-def: $vgpr63
                                        ; implicit-def: $vgpr0
                                        ; kill: killed $vgpr0
                                        ; implicit-def: $vgpr0
                                        ; kill: killed $vgpr0
	;; [unrolled: 2-line block ×12, first 2 shown]
.LBB13_39:                              ;   in Loop: Header=BB13_35 Depth=3
	s_or_saveexec_b64 s[6:7], s[26:27]
	s_mov_b32 s26, 0xbed00
	buffer_load_dword v1, off, s[0:3], s26  ; 4-byte Folded Reload
	v_mov_b32_e32 v10, v44
	v_mov_b32_e32 v6, v44
	;; [unrolled: 1-line block ×36, first 2 shown]
	s_xor_b64 exec, exec, s[6:7]
	s_cbranch_execz .LBB13_41
; %bb.40:                               ;   in Loop: Header=BB13_35 Depth=3
	s_andn2_b64 s[24:25], s[24:25], exec
	s_and_b64 s[26:27], vcc, exec
	s_or_b64 s[24:25], s[24:25], s[26:27]
	s_mov_b32 s26, 0xbe100
	buffer_load_dword v13, off, s[0:3], s26 ; 4-byte Folded Reload
	s_mov_b32 s26, 0xbf500
	buffer_load_dword v1, off, s[0:3], s26  ; 4-byte Folded Reload
	s_mov_b32 s26, 0xbf000
	buffer_load_dword v57, off, s[0:3], s26 ; 4-byte Folded Reload
	s_mov_b32 s26, 0xbee00
	buffer_load_dword v56, off, s[0:3], s26 ; 4-byte Folded Reload
	;; [unrolled: 2-line block ×13, first 2 shown]
	v_mov_b32_e32 v7, 26
	v_mov_b32_e32 v26, s17
	s_andn2_b64 s[22:23], s[22:23], exec
	v_mov_b32_e32 v61, v63
	v_mov_b32_e32 v10, v23
	;; [unrolled: 1-line block ×9, first 2 shown]
	s_waitcnt vmcnt(14)
	v_mov_b32_e32 v6, v13
	s_waitcnt vmcnt(12)
	v_mov_b32_e32 v5, v57
	;; [unrolled: 2-line block ×14, first 2 shown]
.LBB13_41:                              ;   in Loop: Header=BB13_35 Depth=3
	s_or_b64 exec, exec, s[6:7]
	s_mov_b32 s6, 0xbe200
	buffer_store_dword v43, off, s[0:3], s6 ; 4-byte Folded Spill
	s_mov_b32 s6, 0xbe300
	buffer_store_dword v42, off, s[0:3], s6 ; 4-byte Folded Spill
	;; [unrolled: 2-line block ×13, first 2 shown]
	v_mov_b32_e32 v22, v58
	v_mov_b32_e32 v27, v59
	;; [unrolled: 1-line block ×3, first 2 shown]
	s_mov_b32 s6, 0xbe100
	v_mov_b32_e32 v23, v62
	buffer_store_dword v13, off, s[0:3], s6 ; 4-byte Folded Spill
	s_and_saveexec_b64 s[26:27], s[24:25]
	s_cbranch_execz .LBB13_43
; %bb.42:                               ;   in Loop: Header=BB13_35 Depth=3
	s_mov_b32 s6, 0xbf400
	s_waitcnt vmcnt(14)
	buffer_load_dword v1, v1, s[0:3], 0 offen
	v_mov_b32_e32 v26, s17
	buffer_load_dword v7, off, s[0:3], s6   ; 4-byte Folded Reload
	s_andn2_b64 s[22:23], s[22:23], exec
	v_mov_b32_e32 v27, v3
	v_mov_b32_e32 v24, v0
	s_waitcnt vmcnt(0)
	v_cmp_ge_i32_e64 s[6:7], v1, v7
	v_mov_b32_e32 v1, s16
	v_cndmask_b32_e64 v1, -1, v1, s[6:7]
	s_mov_b32 s6, 0xbf200
	s_nop 1
	buffer_load_dword v22, off, s[0:3], s6  ; 4-byte Folded Reload
	buffer_load_dword v23, off, s[0:3], s6 offset:4 ; 4-byte Folded Reload
	s_mov_b32 s6, 0xbe200
	buffer_store_dword v45, off, s[0:3], s6 ; 4-byte Folded Spill
	s_mov_b32 s6, 0xbe300
	buffer_store_dword v21, off, s[0:3], s6 ; 4-byte Folded Spill
	;; [unrolled: 2-line block ×10, first 2 shown]
	s_mov_b32 s6, 0xbec00
	buffer_store_dword v9, off, s[0:3], s6  ; 4-byte Folded Spill
	s_mov_b32 s6, 0xbee00
	buffer_store_dword v8, off, s[0:3], s6  ; 4-byte Folded Spill
	s_mov_b32 s6, 0xbf000
	v_mov_b32_e32 v7, 1
	buffer_store_dword v5, off, s[0:3], s6  ; 4-byte Folded Spill
	s_mov_b32 s6, 0xbe100
	buffer_store_dword v6, off, s[0:3], s6  ; 4-byte Folded Spill
	s_waitcnt vmcnt(14)
	global_store_dword v[22:23], v1, off
	v_mov_b32_e32 v22, v4
	v_mov_b32_e32 v23, v10
.LBB13_43:                              ;   in Loop: Header=BB13_35 Depth=3
	s_or_b64 exec, exec, s[26:27]
	s_mov_b64 s[6:7], -1
                                        ; implicit-def: $vgpr63
	s_and_saveexec_b64 s[24:25], s[22:23]
	s_cbranch_execz .LBB13_34
; %bb.44:                               ;   in Loop: Header=BB13_35 Depth=3
	v_cmp_gt_i32_e64 s[6:7], 2, v61
	v_add_u32_e32 v63, -2, v61
	v_mov_b32_e32 v7, 26
	s_orn2_b64 s[6:7], s[6:7], exec
	s_branch .LBB13_34
.LBB13_45:                              ;   in Loop: Header=BB13_33 Depth=2
	s_or_b64 exec, exec, s[20:21]
	v_cmp_eq_u32_e64 s[6:7], 26, v7
	s_mov_b64 s[20:21], -1
	s_and_saveexec_b64 s[22:23], s[6:7]
	s_cbranch_execz .LBB13_32
; %bb.46:                               ;   in Loop: Header=BB13_33 Depth=2
	s_add_i32 s24, s28, 1
	s_cmp_eq_u32 s28, s9
	s_cselect_b64 s[6:7], -1, 0
	v_mov_b32_e32 v7, 23
	s_orn2_b64 s[20:21], s[6:7], exec
	s_mov_b32 s28, s24
	s_branch .LBB13_32
.LBB13_47:
	s_or_b64 exec, exec, s[10:11]
	v_mov_b32_e32 v0, 0x2ef0
	buffer_store_dword v12, v0, s[0:3], 0 offen offset:144
	v_mov_b32_e32 v0, 0x2ef0
	s_waitcnt vmcnt(1)
	buffer_store_dword v2, v0, s[0:3], 0 offen offset:64
.LBB13_48:
	s_endpgm
	.section	.rodata,"a",@progbits
	.p2align	6, 0x0
	.amdhsa_kernel _Z12kernel_alignfPKiPKlPKjS0_iPii
		.amdhsa_group_segment_fixed_size 0
		.amdhsa_private_segment_fixed_size 12272
		.amdhsa_kernarg_size 320
		.amdhsa_user_sgpr_count 6
		.amdhsa_user_sgpr_private_segment_buffer 1
		.amdhsa_user_sgpr_dispatch_ptr 0
		.amdhsa_user_sgpr_queue_ptr 0
		.amdhsa_user_sgpr_kernarg_segment_ptr 1
		.amdhsa_user_sgpr_dispatch_id 0
		.amdhsa_user_sgpr_flat_scratch_init 0
		.amdhsa_user_sgpr_private_segment_size 0
		.amdhsa_uses_dynamic_stack 0
		.amdhsa_system_sgpr_private_segment_wavefront_offset 1
		.amdhsa_system_sgpr_workgroup_id_x 1
		.amdhsa_system_sgpr_workgroup_id_y 0
		.amdhsa_system_sgpr_workgroup_id_z 0
		.amdhsa_system_sgpr_workgroup_info 0
		.amdhsa_system_vgpr_workitem_id 0
		.amdhsa_next_free_vgpr 64
		.amdhsa_next_free_sgpr 32
		.amdhsa_reserve_vcc 1
		.amdhsa_reserve_flat_scratch 0
		.amdhsa_float_round_mode_32 0
		.amdhsa_float_round_mode_16_64 0
		.amdhsa_float_denorm_mode_32 3
		.amdhsa_float_denorm_mode_16_64 3
		.amdhsa_dx10_clamp 1
		.amdhsa_ieee_mode 1
		.amdhsa_fp16_overflow 0
		.amdhsa_exception_fp_ieee_invalid_op 0
		.amdhsa_exception_fp_denorm_src 0
		.amdhsa_exception_fp_ieee_div_zero 0
		.amdhsa_exception_fp_ieee_overflow 0
		.amdhsa_exception_fp_ieee_underflow 0
		.amdhsa_exception_fp_ieee_inexact 0
		.amdhsa_exception_int_div_zero 0
	.end_amdhsa_kernel
	.text
.Lfunc_end13:
	.size	_Z12kernel_alignfPKiPKlPKjS0_iPii, .Lfunc_end13-_Z12kernel_alignfPKiPKlPKjS0_iPii
                                        ; -- End function
	.set _Z12kernel_alignfPKiPKlPKjS0_iPii.num_vgpr, 64
	.set _Z12kernel_alignfPKiPKlPKjS0_iPii.num_agpr, 0
	.set _Z12kernel_alignfPKiPKlPKjS0_iPii.numbered_sgpr, 32
	.set _Z12kernel_alignfPKiPKlPKjS0_iPii.num_named_barrier, 0
	.set _Z12kernel_alignfPKiPKlPKjS0_iPii.private_seg_size, 12272
	.set _Z12kernel_alignfPKiPKlPKjS0_iPii.uses_vcc, 1
	.set _Z12kernel_alignfPKiPKlPKjS0_iPii.uses_flat_scratch, 0
	.set _Z12kernel_alignfPKiPKlPKjS0_iPii.has_dyn_sized_stack, 0
	.set _Z12kernel_alignfPKiPKlPKjS0_iPii.has_recursion, 0
	.set _Z12kernel_alignfPKiPKlPKjS0_iPii.has_indirect_call, 0
	.section	.AMDGPU.csdata,"",@progbits
; Kernel info:
; codeLenInByte = 9512
; TotalNumSgprs: 36
; NumVgprs: 64
; ScratchSize: 12272
; MemoryBound: 0
; FloatMode: 240
; IeeeMode: 1
; LDSByteSize: 0 bytes/workgroup (compile time only)
; SGPRBlocks: 4
; VGPRBlocks: 15
; NumSGPRsForWavesPerEU: 36
; NumVGPRsForWavesPerEU: 64
; Occupancy: 4
; WaveLimiterHint : 1
; COMPUTE_PGM_RSRC2:SCRATCH_EN: 1
; COMPUTE_PGM_RSRC2:USER_SGPR: 6
; COMPUTE_PGM_RSRC2:TRAP_HANDLER: 0
; COMPUTE_PGM_RSRC2:TGID_X_EN: 1
; COMPUTE_PGM_RSRC2:TGID_Y_EN: 0
; COMPUTE_PGM_RSRC2:TGID_Z_EN: 0
; COMPUTE_PGM_RSRC2:TIDIG_COMP_CNT: 0
	.section	.AMDGPU.gpr_maximums,"",@progbits
	.set amdgpu.max_num_vgpr, 0
	.set amdgpu.max_num_agpr, 0
	.set amdgpu.max_num_sgpr, 0
	.section	.AMDGPU.csdata,"",@progbits
	.type	__hip_cuid_4bfdb67efd5b4044,@object ; @__hip_cuid_4bfdb67efd5b4044
	.section	.bss,"aw",@nobits
	.globl	__hip_cuid_4bfdb67efd5b4044
__hip_cuid_4bfdb67efd5b4044:
	.byte	0                               ; 0x0
	.size	__hip_cuid_4bfdb67efd5b4044, 1

	.ident	"AMD clang version 22.0.0git (https://github.com/RadeonOpenCompute/llvm-project roc-7.2.4 26084 f58b06dce1f9c15707c5f808fd002e18c2accf7e)"
	.section	".note.GNU-stack","",@progbits
	.addrsig
	.addrsig_sym __hip_cuid_4bfdb67efd5b4044
	.amdgpu_metadata
---
amdhsa.kernels:
  - .args:
      - .address_space:  global
        .offset:         0
        .size:           8
        .value_kind:     global_buffer
      - .offset:         8
        .size:           8
        .value_kind:     by_value
      - .offset:         16
        .size:           4
        .value_kind:     hidden_block_count_x
      - .offset:         20
        .size:           4
        .value_kind:     hidden_block_count_y
      - .offset:         24
        .size:           4
        .value_kind:     hidden_block_count_z
      - .offset:         28
        .size:           2
        .value_kind:     hidden_group_size_x
      - .offset:         30
        .size:           2
        .value_kind:     hidden_group_size_y
      - .offset:         32
        .size:           2
        .value_kind:     hidden_group_size_z
      - .offset:         34
        .size:           2
        .value_kind:     hidden_remainder_x
      - .offset:         36
        .size:           2
        .value_kind:     hidden_remainder_y
      - .offset:         38
        .size:           2
        .value_kind:     hidden_remainder_z
      - .offset:         56
        .size:           8
        .value_kind:     hidden_global_offset_x
      - .offset:         64
        .size:           8
        .value_kind:     hidden_global_offset_y
      - .offset:         72
        .size:           8
        .value_kind:     hidden_global_offset_z
      - .offset:         80
        .size:           2
        .value_kind:     hidden_grid_dims
    .group_segment_fixed_size: 0
    .kernarg_segment_align: 8
    .kernarg_segment_size: 272
    .language:       OpenCL C
    .language_version:
      - 2
      - 0
    .max_flat_workgroup_size: 1024
    .name:           _Z19kernel_baseToNumberPcl
    .private_segment_fixed_size: 0
    .sgpr_count:     48
    .sgpr_spill_count: 0
    .symbol:         _Z19kernel_baseToNumberPcl.kd
    .uniform_work_group_size: 1
    .uses_dynamic_stack: false
    .vgpr_count:     22
    .vgpr_spill_count: 0
    .wavefront_size: 64
  - .args:
      - .address_space:  global
        .offset:         0
        .size:           8
        .value_kind:     global_buffer
      - .address_space:  global
        .offset:         8
        .size:           8
        .value_kind:     global_buffer
      - .address_space:  global
        .offset:         16
        .size:           8
        .value_kind:     global_buffer
      - .address_space:  global
        .offset:         24
        .size:           8
        .value_kind:     global_buffer
      - .address_space:  global
        .offset:         32
        .size:           8
        .value_kind:     global_buffer
      - .offset:         40
        .size:           4
        .value_kind:     by_value
      - .offset:         48
        .size:           4
        .value_kind:     hidden_block_count_x
      - .offset:         52
        .size:           4
        .value_kind:     hidden_block_count_y
      - .offset:         56
        .size:           4
        .value_kind:     hidden_block_count_z
      - .offset:         60
        .size:           2
        .value_kind:     hidden_group_size_x
      - .offset:         62
        .size:           2
        .value_kind:     hidden_group_size_y
      - .offset:         64
        .size:           2
        .value_kind:     hidden_group_size_z
      - .offset:         66
        .size:           2
        .value_kind:     hidden_remainder_x
      - .offset:         68
        .size:           2
        .value_kind:     hidden_remainder_y
      - .offset:         70
        .size:           2
        .value_kind:     hidden_remainder_z
      - .offset:         88
        .size:           8
        .value_kind:     hidden_global_offset_x
      - .offset:         96
        .size:           8
        .value_kind:     hidden_global_offset_y
      - .offset:         104
        .size:           8
        .value_kind:     hidden_global_offset_z
      - .offset:         112
        .size:           2
        .value_kind:     hidden_grid_dims
    .group_segment_fixed_size: 0
    .kernarg_segment_align: 8
    .kernarg_segment_size: 304
    .language:       OpenCL C
    .language_version:
      - 2
      - 0
    .max_flat_workgroup_size: 1024
    .name:           _Z19kernel_compressDataPKiPKlPKcPjPii
    .private_segment_fixed_size: 0
    .sgpr_count:     20
    .sgpr_spill_count: 0
    .symbol:         _Z19kernel_compressDataPKiPKlPKcPjPii.kd
    .uniform_work_group_size: 1
    .uses_dynamic_stack: false
    .vgpr_count:     14
    .vgpr_spill_count: 0
    .wavefront_size: 64
  - .args:
      - .address_space:  global
        .offset:         0
        .size:           8
        .value_kind:     global_buffer
      - .address_space:  global
        .offset:         8
        .size:           8
        .value_kind:     global_buffer
      - .address_space:  global
        .offset:         16
        .size:           8
        .value_kind:     global_buffer
      - .address_space:  global
        .offset:         24
        .size:           8
        .value_kind:     global_buffer
      - .address_space:  global
        .offset:         32
        .size:           8
        .value_kind:     global_buffer
      - .address_space:  global
        .offset:         40
        .size:           8
        .value_kind:     global_buffer
      - .address_space:  global
        .offset:         48
        .size:           8
        .value_kind:     global_buffer
      - .offset:         56
        .size:           4
        .value_kind:     by_value
      - .offset:         64
        .size:           4
        .value_kind:     hidden_block_count_x
      - .offset:         68
        .size:           4
        .value_kind:     hidden_block_count_y
      - .offset:         72
        .size:           4
        .value_kind:     hidden_block_count_z
      - .offset:         76
        .size:           2
        .value_kind:     hidden_group_size_x
      - .offset:         78
        .size:           2
        .value_kind:     hidden_group_size_y
      - .offset:         80
        .size:           2
        .value_kind:     hidden_group_size_z
      - .offset:         82
        .size:           2
        .value_kind:     hidden_remainder_x
      - .offset:         84
        .size:           2
        .value_kind:     hidden_remainder_y
      - .offset:         86
        .size:           2
        .value_kind:     hidden_remainder_z
      - .offset:         104
        .size:           8
        .value_kind:     hidden_global_offset_x
      - .offset:         112
        .size:           8
        .value_kind:     hidden_global_offset_y
      - .offset:         120
        .size:           8
        .value_kind:     hidden_global_offset_z
      - .offset:         128
        .size:           2
        .value_kind:     hidden_grid_dims
    .group_segment_fixed_size: 0
    .kernarg_segment_align: 8
    .kernarg_segment_size: 320
    .language:       OpenCL C
    .language_version:
      - 2
      - 0
    .max_flat_workgroup_size: 1024
    .name:           _Z19kernel_createIndex4PKcPKiPKlPtS5_PlPii
    .private_segment_fixed_size: 0
    .sgpr_count:     20
    .sgpr_spill_count: 0
    .symbol:         _Z19kernel_createIndex4PKcPKiPKlPtS5_PlPii.kd
    .uniform_work_group_size: 1
    .uses_dynamic_stack: false
    .vgpr_count:     23
    .vgpr_spill_count: 0
    .wavefront_size: 64
  - .args:
      - .address_space:  global
        .offset:         0
        .size:           8
        .value_kind:     global_buffer
      - .address_space:  global
        .offset:         8
        .size:           8
        .value_kind:     global_buffer
      - .address_space:  global
        .offset:         16
        .size:           8
        .value_kind:     global_buffer
      - .address_space:  global
        .offset:         24
        .size:           8
        .value_kind:     global_buffer
      - .address_space:  global
        .offset:         32
        .size:           8
        .value_kind:     global_buffer
      - .address_space:  global
        .offset:         40
        .size:           8
        .value_kind:     global_buffer
      - .address_space:  global
        .offset:         48
        .size:           8
        .value_kind:     global_buffer
      - .offset:         56
        .size:           4
        .value_kind:     by_value
      - .offset:         64
        .size:           4
        .value_kind:     hidden_block_count_x
      - .offset:         68
        .size:           4
        .value_kind:     hidden_block_count_y
      - .offset:         72
        .size:           4
        .value_kind:     hidden_block_count_z
      - .offset:         76
        .size:           2
        .value_kind:     hidden_group_size_x
      - .offset:         78
        .size:           2
        .value_kind:     hidden_group_size_y
      - .offset:         80
        .size:           2
        .value_kind:     hidden_group_size_z
      - .offset:         82
        .size:           2
        .value_kind:     hidden_remainder_x
      - .offset:         84
        .size:           2
        .value_kind:     hidden_remainder_y
      - .offset:         86
        .size:           2
        .value_kind:     hidden_remainder_z
      - .offset:         104
        .size:           8
        .value_kind:     hidden_global_offset_x
      - .offset:         112
        .size:           8
        .value_kind:     hidden_global_offset_y
      - .offset:         120
        .size:           8
        .value_kind:     hidden_global_offset_z
      - .offset:         128
        .size:           2
        .value_kind:     hidden_grid_dims
    .group_segment_fixed_size: 0
    .kernarg_segment_align: 8
    .kernarg_segment_size: 320
    .language:       OpenCL C
    .language_version:
      - 2
      - 0
    .max_flat_workgroup_size: 1024
    .name:           _Z19kernel_createIndex5PKcPKiPKlPtS5_PlPii
    .private_segment_fixed_size: 0
    .sgpr_count:     20
    .sgpr_spill_count: 0
    .symbol:         _Z19kernel_createIndex5PKcPKiPKlPtS5_PlPii.kd
    .uniform_work_group_size: 1
    .uses_dynamic_stack: false
    .vgpr_count:     26
    .vgpr_spill_count: 0
    .wavefront_size: 64
  - .args:
      - .address_space:  global
        .offset:         0
        .size:           8
        .value_kind:     global_buffer
      - .address_space:  global
        .offset:         8
        .size:           8
        .value_kind:     global_buffer
      - .address_space:  global
        .offset:         16
        .size:           8
        .value_kind:     global_buffer
      - .address_space:  global
        .offset:         24
        .size:           8
        .value_kind:     global_buffer
      - .address_space:  global
        .offset:         32
        .size:           8
        .value_kind:     global_buffer
      - .address_space:  global
        .offset:         40
        .size:           8
        .value_kind:     global_buffer
      - .address_space:  global
        .offset:         48
        .size:           8
        .value_kind:     global_buffer
      - .offset:         56
        .size:           4
        .value_kind:     by_value
      - .offset:         64
        .size:           4
        .value_kind:     hidden_block_count_x
      - .offset:         68
        .size:           4
        .value_kind:     hidden_block_count_y
      - .offset:         72
        .size:           4
        .value_kind:     hidden_block_count_z
      - .offset:         76
        .size:           2
        .value_kind:     hidden_group_size_x
      - .offset:         78
        .size:           2
        .value_kind:     hidden_group_size_y
      - .offset:         80
        .size:           2
        .value_kind:     hidden_group_size_z
      - .offset:         82
        .size:           2
        .value_kind:     hidden_remainder_x
      - .offset:         84
        .size:           2
        .value_kind:     hidden_remainder_y
      - .offset:         86
        .size:           2
        .value_kind:     hidden_remainder_z
      - .offset:         104
        .size:           8
        .value_kind:     hidden_global_offset_x
      - .offset:         112
        .size:           8
        .value_kind:     hidden_global_offset_y
      - .offset:         120
        .size:           8
        .value_kind:     hidden_global_offset_z
      - .offset:         128
        .size:           2
        .value_kind:     hidden_grid_dims
    .group_segment_fixed_size: 0
    .kernarg_segment_align: 8
    .kernarg_segment_size: 320
    .language:       OpenCL C
    .language_version:
      - 2
      - 0
    .max_flat_workgroup_size: 1024
    .name:           _Z19kernel_createIndex6PKcPKiPKlPtS5_PlPii
    .private_segment_fixed_size: 0
    .sgpr_count:     21
    .sgpr_spill_count: 0
    .symbol:         _Z19kernel_createIndex6PKcPKiPKlPtS5_PlPii.kd
    .uniform_work_group_size: 1
    .uses_dynamic_stack: false
    .vgpr_count:     27
    .vgpr_spill_count: 0
    .wavefront_size: 64
  - .args:
      - .address_space:  global
        .offset:         0
        .size:           8
        .value_kind:     global_buffer
      - .address_space:  global
        .offset:         8
        .size:           8
        .value_kind:     global_buffer
      - .address_space:  global
        .offset:         16
        .size:           8
        .value_kind:     global_buffer
      - .address_space:  global
        .offset:         24
        .size:           8
        .value_kind:     global_buffer
      - .address_space:  global
        .offset:         32
        .size:           8
        .value_kind:     global_buffer
      - .address_space:  global
        .offset:         40
        .size:           8
        .value_kind:     global_buffer
      - .address_space:  global
        .offset:         48
        .size:           8
        .value_kind:     global_buffer
      - .offset:         56
        .size:           4
        .value_kind:     by_value
      - .offset:         64
        .size:           4
        .value_kind:     hidden_block_count_x
      - .offset:         68
        .size:           4
        .value_kind:     hidden_block_count_y
      - .offset:         72
        .size:           4
        .value_kind:     hidden_block_count_z
      - .offset:         76
        .size:           2
        .value_kind:     hidden_group_size_x
      - .offset:         78
        .size:           2
        .value_kind:     hidden_group_size_y
      - .offset:         80
        .size:           2
        .value_kind:     hidden_group_size_z
      - .offset:         82
        .size:           2
        .value_kind:     hidden_remainder_x
      - .offset:         84
        .size:           2
        .value_kind:     hidden_remainder_y
      - .offset:         86
        .size:           2
        .value_kind:     hidden_remainder_z
      - .offset:         104
        .size:           8
        .value_kind:     hidden_global_offset_x
      - .offset:         112
        .size:           8
        .value_kind:     hidden_global_offset_y
      - .offset:         120
        .size:           8
        .value_kind:     hidden_global_offset_z
      - .offset:         128
        .size:           2
        .value_kind:     hidden_grid_dims
    .group_segment_fixed_size: 0
    .kernarg_segment_align: 8
    .kernarg_segment_size: 320
    .language:       OpenCL C
    .language_version:
      - 2
      - 0
    .max_flat_workgroup_size: 1024
    .name:           _Z19kernel_createIndex7PKcPKiPKlPtS5_PlPii
    .private_segment_fixed_size: 0
    .sgpr_count:     21
    .sgpr_spill_count: 0
    .symbol:         _Z19kernel_createIndex7PKcPKiPKlPtS5_PlPii.kd
    .uniform_work_group_size: 1
    .uses_dynamic_stack: false
    .vgpr_count:     27
    .vgpr_spill_count: 0
    .wavefront_size: 64
  - .args:
      - .offset:         0
        .size:           4
        .value_kind:     by_value
      - .offset:         4
        .size:           4
        .value_kind:     by_value
      - .address_space:  global
        .offset:         8
        .size:           8
        .value_kind:     global_buffer
      - .address_space:  global
        .offset:         16
        .size:           8
        .value_kind:     global_buffer
      - .address_space:  global
        .offset:         24
        .size:           8
        .value_kind:     global_buffer
      - .offset:         32
        .size:           4
        .value_kind:     by_value
      - .offset:         40
        .size:           4
        .value_kind:     hidden_block_count_x
      - .offset:         44
        .size:           4
        .value_kind:     hidden_block_count_y
      - .offset:         48
        .size:           4
        .value_kind:     hidden_block_count_z
      - .offset:         52
        .size:           2
        .value_kind:     hidden_group_size_x
      - .offset:         54
        .size:           2
        .value_kind:     hidden_group_size_y
      - .offset:         56
        .size:           2
        .value_kind:     hidden_group_size_z
      - .offset:         58
        .size:           2
        .value_kind:     hidden_remainder_x
      - .offset:         60
        .size:           2
        .value_kind:     hidden_remainder_y
      - .offset:         62
        .size:           2
        .value_kind:     hidden_remainder_z
      - .offset:         80
        .size:           8
        .value_kind:     hidden_global_offset_x
      - .offset:         88
        .size:           8
        .value_kind:     hidden_global_offset_y
      - .offset:         96
        .size:           8
        .value_kind:     hidden_global_offset_z
      - .offset:         104
        .size:           2
        .value_kind:     hidden_grid_dims
    .group_segment_fixed_size: 0
    .kernarg_segment_align: 8
    .kernarg_segment_size: 296
    .language:       OpenCL C
    .language_version:
      - 2
      - 0
    .max_flat_workgroup_size: 1024
    .name:           _Z19kernel_createCutofffiPKiPlPii
    .private_segment_fixed_size: 0
    .sgpr_count:     12
    .sgpr_spill_count: 0
    .symbol:         _Z19kernel_createCutofffiPKiPlPii.kd
    .uniform_work_group_size: 1
    .uses_dynamic_stack: false
    .vgpr_count:     6
    .vgpr_spill_count: 0
    .wavefront_size: 64
  - .args:
      - .address_space:  global
        .offset:         0
        .size:           8
        .value_kind:     global_buffer
      - .address_space:  global
        .offset:         8
        .size:           8
        .value_kind:     global_buffer
      - .address_space:  global
        .offset:         16
        .size:           8
        .value_kind:     global_buffer
      - .address_space:  global
        .offset:         24
        .size:           8
        .value_kind:     global_buffer
      - .offset:         32
        .size:           4
        .value_kind:     by_value
      - .offset:         40
        .size:           4
        .value_kind:     hidden_block_count_x
      - .offset:         44
        .size:           4
        .value_kind:     hidden_block_count_y
      - .offset:         48
        .size:           4
        .value_kind:     hidden_block_count_z
      - .offset:         52
        .size:           2
        .value_kind:     hidden_group_size_x
      - .offset:         54
        .size:           2
        .value_kind:     hidden_group_size_y
      - .offset:         56
        .size:           2
        .value_kind:     hidden_group_size_z
      - .offset:         58
        .size:           2
        .value_kind:     hidden_remainder_x
      - .offset:         60
        .size:           2
        .value_kind:     hidden_remainder_y
      - .offset:         62
        .size:           2
        .value_kind:     hidden_remainder_z
      - .offset:         80
        .size:           8
        .value_kind:     hidden_global_offset_x
      - .offset:         88
        .size:           8
        .value_kind:     hidden_global_offset_y
      - .offset:         96
        .size:           8
        .value_kind:     hidden_global_offset_z
      - .offset:         104
        .size:           2
        .value_kind:     hidden_grid_dims
    .group_segment_fixed_size: 0
    .kernarg_segment_align: 8
    .kernarg_segment_size: 296
    .language:       OpenCL C
    .language_version:
      - 2
      - 0
    .max_flat_workgroup_size: 1024
    .name:           _Z17kernel_mergeIndexPKlPKtPtS0_i
    .private_segment_fixed_size: 0
    .sgpr_count:     20
    .sgpr_spill_count: 0
    .symbol:         _Z17kernel_mergeIndexPKlPKtPtS0_i.kd
    .uniform_work_group_size: 1
    .uses_dynamic_stack: false
    .vgpr_count:     11
    .vgpr_spill_count: 0
    .wavefront_size: 64
  - .args:
      - .address_space:  global
        .offset:         0
        .size:           8
        .value_kind:     global_buffer
      - .address_space:  global
        .offset:         8
        .size:           8
        .value_kind:     global_buffer
      - .offset:         16
        .size:           4
        .value_kind:     by_value
    .group_segment_fixed_size: 0
    .kernarg_segment_align: 8
    .kernarg_segment_size: 20
    .language:       OpenCL C
    .language_version:
      - 2
      - 0
    .max_flat_workgroup_size: 1024
    .name:           _Z27kernel_updateRepresentativePiS_i
    .private_segment_fixed_size: 0
    .sgpr_count:     16
    .sgpr_spill_count: 0
    .symbol:         _Z27kernel_updateRepresentativePiS_i.kd
    .uniform_work_group_size: 1
    .uses_dynamic_stack: false
    .vgpr_count:     2
    .vgpr_spill_count: 0
    .wavefront_size: 64
  - .args:
      - .address_space:  global
        .offset:         0
        .size:           8
        .value_kind:     global_buffer
      - .address_space:  global
        .offset:         8
        .size:           8
        .value_kind:     global_buffer
      - .address_space:  global
        .offset:         16
        .size:           8
        .value_kind:     global_buffer
      - .address_space:  global
        .offset:         24
        .size:           8
        .value_kind:     global_buffer
      - .address_space:  global
        .offset:         32
        .size:           8
        .value_kind:     global_buffer
      - .offset:         40
        .size:           4
        .value_kind:     by_value
      - .offset:         48
        .size:           4
        .value_kind:     hidden_block_count_x
      - .offset:         52
        .size:           4
        .value_kind:     hidden_block_count_y
      - .offset:         56
        .size:           4
        .value_kind:     hidden_block_count_z
      - .offset:         60
        .size:           2
        .value_kind:     hidden_group_size_x
      - .offset:         62
        .size:           2
        .value_kind:     hidden_group_size_y
      - .offset:         64
        .size:           2
        .value_kind:     hidden_group_size_z
      - .offset:         66
        .size:           2
        .value_kind:     hidden_remainder_x
      - .offset:         68
        .size:           2
        .value_kind:     hidden_remainder_y
      - .offset:         70
        .size:           2
        .value_kind:     hidden_remainder_z
      - .offset:         88
        .size:           8
        .value_kind:     hidden_global_offset_x
      - .offset:         96
        .size:           8
        .value_kind:     hidden_global_offset_y
      - .offset:         104
        .size:           8
        .value_kind:     hidden_global_offset_z
      - .offset:         112
        .size:           2
        .value_kind:     hidden_grid_dims
    .group_segment_fixed_size: 0
    .kernarg_segment_align: 8
    .kernarg_segment_size: 304
    .language:       OpenCL C
    .language_version:
      - 2
      - 0
    .max_flat_workgroup_size: 1024
    .name:           _Z16kernel_makeTablePKlPKtS2_S0_Pti
    .private_segment_fixed_size: 0
    .sgpr_count:     20
    .sgpr_spill_count: 0
    .symbol:         _Z16kernel_makeTablePKlPKtS2_S0_Pti.kd
    .uniform_work_group_size: 1
    .uses_dynamic_stack: false
    .vgpr_count:     7
    .vgpr_spill_count: 0
    .wavefront_size: 64
  - .args:
      - .address_space:  global
        .offset:         0
        .size:           8
        .value_kind:     global_buffer
      - .address_space:  global
        .offset:         8
        .size:           8
        .value_kind:     global_buffer
      - .address_space:  global
        .offset:         16
        .size:           8
        .value_kind:     global_buffer
      - .address_space:  global
        .offset:         24
        .size:           8
        .value_kind:     global_buffer
      - .address_space:  global
        .offset:         32
        .size:           8
        .value_kind:     global_buffer
      - .offset:         40
        .size:           4
        .value_kind:     by_value
      - .offset:         48
        .size:           4
        .value_kind:     hidden_block_count_x
      - .offset:         52
        .size:           4
        .value_kind:     hidden_block_count_y
      - .offset:         56
        .size:           4
        .value_kind:     hidden_block_count_z
      - .offset:         60
        .size:           2
        .value_kind:     hidden_group_size_x
      - .offset:         62
        .size:           2
        .value_kind:     hidden_group_size_y
      - .offset:         64
        .size:           2
        .value_kind:     hidden_group_size_z
      - .offset:         66
        .size:           2
        .value_kind:     hidden_remainder_x
      - .offset:         68
        .size:           2
        .value_kind:     hidden_remainder_y
      - .offset:         70
        .size:           2
        .value_kind:     hidden_remainder_z
      - .offset:         88
        .size:           8
        .value_kind:     hidden_global_offset_x
      - .offset:         96
        .size:           8
        .value_kind:     hidden_global_offset_y
      - .offset:         104
        .size:           8
        .value_kind:     hidden_global_offset_z
      - .offset:         112
        .size:           2
        .value_kind:     hidden_grid_dims
    .group_segment_fixed_size: 0
    .kernarg_segment_align: 8
    .kernarg_segment_size: 304
    .language:       OpenCL C
    .language_version:
      - 2
      - 0
    .max_flat_workgroup_size: 1024
    .name:           _Z17kernel_cleanTablePKlPKtS2_S0_Pti
    .private_segment_fixed_size: 0
    .sgpr_count:     20
    .sgpr_spill_count: 0
    .symbol:         _Z17kernel_cleanTablePKlPKtS2_S0_Pti.kd
    .uniform_work_group_size: 1
    .uses_dynamic_stack: false
    .vgpr_count:     7
    .vgpr_spill_count: 0
    .wavefront_size: 64
  - .args:
      - .offset:         0
        .size:           4
        .value_kind:     by_value
      - .address_space:  global
        .offset:         8
        .size:           8
        .value_kind:     global_buffer
      - .address_space:  global
        .offset:         16
        .size:           8
        .value_kind:     global_buffer
      - .address_space:  global
        .offset:         24
        .size:           8
        .value_kind:     global_buffer
      - .offset:         32
        .size:           4
        .value_kind:     by_value
      - .offset:         36
        .size:           4
        .value_kind:     by_value
      - .offset:         40
        .size:           4
        .value_kind:     hidden_block_count_x
      - .offset:         44
        .size:           4
        .value_kind:     hidden_block_count_y
      - .offset:         48
        .size:           4
        .value_kind:     hidden_block_count_z
      - .offset:         52
        .size:           2
        .value_kind:     hidden_group_size_x
      - .offset:         54
        .size:           2
        .value_kind:     hidden_group_size_y
      - .offset:         56
        .size:           2
        .value_kind:     hidden_group_size_z
      - .offset:         58
        .size:           2
        .value_kind:     hidden_remainder_x
      - .offset:         60
        .size:           2
        .value_kind:     hidden_remainder_y
      - .offset:         62
        .size:           2
        .value_kind:     hidden_remainder_z
      - .offset:         80
        .size:           8
        .value_kind:     hidden_global_offset_x
      - .offset:         88
        .size:           8
        .value_kind:     hidden_global_offset_y
      - .offset:         96
        .size:           8
        .value_kind:     hidden_global_offset_z
      - .offset:         104
        .size:           2
        .value_kind:     hidden_grid_dims
    .group_segment_fixed_size: 0
    .kernarg_segment_align: 8
    .kernarg_segment_size: 296
    .language:       OpenCL C
    .language_version:
      - 2
      - 0
    .max_flat_workgroup_size: 1024
    .name:           _Z12kernel_magicfPKiS0_Piii
    .private_segment_fixed_size: 0
    .sgpr_count:     16
    .sgpr_spill_count: 0
    .symbol:         _Z12kernel_magicfPKiS0_Piii.kd
    .uniform_work_group_size: 1
    .uses_dynamic_stack: false
    .vgpr_count:     11
    .vgpr_spill_count: 0
    .wavefront_size: 64
  - .args:
      - .offset:         0
        .size:           4
        .value_kind:     by_value
      - .offset:         4
        .size:           4
        .value_kind:     by_value
      - .address_space:  global
        .offset:         8
        .size:           8
        .value_kind:     global_buffer
      - .address_space:  global
        .offset:         16
        .size:           8
        .value_kind:     global_buffer
      - .address_space:  global
        .offset:         24
        .size:           8
        .value_kind:     global_buffer
      - .address_space:  global
        .offset:         32
        .size:           8
        .value_kind:     global_buffer
      - .address_space:  global
        .offset:         40
        .size:           8
        .value_kind:     global_buffer
      - .address_space:  global
        .offset:         48
        .size:           8
        .value_kind:     global_buffer
      - .address_space:  global
        .offset:         56
        .size:           8
        .value_kind:     global_buffer
      - .address_space:  global
        .offset:         64
        .size:           8
        .value_kind:     global_buffer
      - .offset:         72
        .size:           4
        .value_kind:     by_value
    .group_segment_fixed_size: 512
    .kernarg_segment_align: 8
    .kernarg_segment_size: 76
    .language:       OpenCL C
    .language_version:
      - 2
      - 0
    .max_flat_workgroup_size: 1024
    .name:           _Z13kernel_filterfiPKiPKlPKtS4_S2_S0_PiS4_i
    .private_segment_fixed_size: 0
    .sgpr_count:     30
    .sgpr_spill_count: 0
    .symbol:         _Z13kernel_filterfiPKiPKlPKtS4_S2_S0_PiS4_i.kd
    .uniform_work_group_size: 1
    .uses_dynamic_stack: false
    .vgpr_count:     18
    .vgpr_spill_count: 0
    .wavefront_size: 64
  - .args:
      - .offset:         0
        .size:           4
        .value_kind:     by_value
      - .address_space:  global
        .offset:         8
        .size:           8
        .value_kind:     global_buffer
      - .address_space:  global
        .offset:         16
        .size:           8
        .value_kind:     global_buffer
      - .address_space:  global
        .offset:         24
        .size:           8
        .value_kind:     global_buffer
      - .address_space:  global
        .offset:         32
        .size:           8
        .value_kind:     global_buffer
      - .offset:         40
        .size:           4
        .value_kind:     by_value
      - .address_space:  global
        .offset:         48
        .size:           8
        .value_kind:     global_buffer
      - .offset:         56
        .size:           4
        .value_kind:     by_value
      - .offset:         64
        .size:           4
        .value_kind:     hidden_block_count_x
      - .offset:         68
        .size:           4
        .value_kind:     hidden_block_count_y
      - .offset:         72
        .size:           4
        .value_kind:     hidden_block_count_z
      - .offset:         76
        .size:           2
        .value_kind:     hidden_group_size_x
      - .offset:         78
        .size:           2
        .value_kind:     hidden_group_size_y
      - .offset:         80
        .size:           2
        .value_kind:     hidden_group_size_z
      - .offset:         82
        .size:           2
        .value_kind:     hidden_remainder_x
      - .offset:         84
        .size:           2
        .value_kind:     hidden_remainder_y
      - .offset:         86
        .size:           2
        .value_kind:     hidden_remainder_z
      - .offset:         104
        .size:           8
        .value_kind:     hidden_global_offset_x
      - .offset:         112
        .size:           8
        .value_kind:     hidden_global_offset_y
      - .offset:         120
        .size:           8
        .value_kind:     hidden_global_offset_z
      - .offset:         128
        .size:           2
        .value_kind:     hidden_grid_dims
    .group_segment_fixed_size: 0
    .kernarg_segment_align: 8
    .kernarg_segment_size: 320
    .language:       OpenCL C
    .language_version:
      - 2
      - 0
    .max_flat_workgroup_size: 1024
    .name:           _Z12kernel_alignfPKiPKlPKjS0_iPii
    .private_segment_fixed_size: 12272
    .sgpr_count:     36
    .sgpr_spill_count: 0
    .symbol:         _Z12kernel_alignfPKiPKlPKjS0_iPii.kd
    .uniform_work_group_size: 1
    .uses_dynamic_stack: false
    .vgpr_count:     64
    .vgpr_spill_count: 88
    .wavefront_size: 64
amdhsa.target:   amdgcn-amd-amdhsa--gfx906
amdhsa.version:
  - 1
  - 2
...

	.end_amdgpu_metadata
